;; amdgpu-corpus repo=ROCm/rocFFT kind=compiled arch=gfx1201 opt=O3
	.text
	.amdgcn_target "amdgcn-amd-amdhsa--gfx1201"
	.amdhsa_code_object_version 6
	.protected	bluestein_single_fwd_len468_dim1_dp_op_CI_CI ; -- Begin function bluestein_single_fwd_len468_dim1_dp_op_CI_CI
	.globl	bluestein_single_fwd_len468_dim1_dp_op_CI_CI
	.p2align	8
	.type	bluestein_single_fwd_len468_dim1_dp_op_CI_CI,@function
bluestein_single_fwd_len468_dim1_dp_op_CI_CI: ; @bluestein_single_fwd_len468_dim1_dp_op_CI_CI
; %bb.0:
	s_load_b128 s[8:11], s[0:1], 0x28
	v_mul_u32_u24_e32 v1, 0x4ed, v0
	s_mov_b32 s2, exec_lo
	v_mov_b32_e32 v133, 0
	s_delay_alu instid0(VALU_DEP_2) | instskip(NEXT) | instid1(VALU_DEP_1)
	v_lshrrev_b32_e32 v1, 16, v1
	v_add_nc_u32_e32 v132, ttmp9, v1
	s_wait_kmcnt 0x0
	s_delay_alu instid0(VALU_DEP_1)
	v_cmpx_gt_u64_e64 s[8:9], v[132:133]
	s_cbranch_execz .LBB0_23
; %bb.1:
	s_clause 0x1
	s_load_b64 s[8:9], s[0:1], 0x0
	s_load_b64 s[12:13], s[0:1], 0x38
	v_mul_lo_u16 v1, v1, 52
	s_delay_alu instid0(VALU_DEP_1) | instskip(NEXT) | instid1(VALU_DEP_1)
	v_sub_nc_u16 v0, v0, v1
	v_and_b32_e32 v254, 0xffff, v0
	v_cmp_gt_u16_e32 vcc_lo, 36, v0
	s_delay_alu instid0(VALU_DEP_2)
	v_lshlrev_b32_e32 v253, 4, v254
	s_and_saveexec_b32 s3, vcc_lo
	s_cbranch_execz .LBB0_3
; %bb.2:
	s_load_b64 s[4:5], s[0:1], 0x18
	s_wait_kmcnt 0x0
	s_load_b128 s[4:7], s[4:5], 0x0
	s_wait_kmcnt 0x0
	v_mad_co_u64_u32 v[16:17], null, s4, v254, 0
	v_mad_co_u64_u32 v[0:1], null, s6, v132, 0
	s_delay_alu instid0(VALU_DEP_2) | instskip(NEXT) | instid1(VALU_DEP_1)
	v_mov_b32_e32 v2, v17
	v_mad_co_u64_u32 v[3:4], null, s7, v132, v[1:2]
	s_delay_alu instid0(VALU_DEP_1) | instskip(SKIP_2) | instid1(VALU_DEP_2)
	v_mov_b32_e32 v1, v3
	v_mad_co_u64_u32 v[4:5], null, s5, v254, v[2:3]
	s_mul_u64 s[4:5], s[4:5], 0x240
	v_lshlrev_b64_e32 v[18:19], 4, v[0:1]
	s_delay_alu instid0(VALU_DEP_2)
	v_mov_b32_e32 v17, v4
	s_clause 0x3
	global_load_b128 v[0:3], v253, s[8:9]
	global_load_b128 v[4:7], v253, s[8:9] offset:576
	global_load_b128 v[8:11], v253, s[8:9] offset:1152
	;; [unrolled: 1-line block ×3, first 2 shown]
	v_add_co_u32 v26, s2, s10, v18
	s_delay_alu instid0(VALU_DEP_1)
	v_add_co_ci_u32_e64 v27, s2, s11, v19, s2
	v_lshlrev_b64_e32 v[24:25], 4, v[16:17]
	s_clause 0x1
	global_load_b128 v[16:19], v253, s[8:9] offset:2304
	global_load_b128 v[20:23], v253, s[8:9] offset:2880
	v_add_co_u32 v40, s2, v26, v24
	s_wait_alu 0xf1ff
	v_add_co_ci_u32_e64 v41, s2, v27, v25, s2
	s_clause 0x1
	global_load_b128 v[24:27], v253, s[8:9] offset:3456
	global_load_b128 v[28:31], v253, s[8:9] offset:4032
	s_wait_alu 0xfffe
	v_add_co_u32 v44, s2, v40, s4
	s_wait_alu 0xf1ff
	v_add_co_ci_u32_e64 v45, s2, s5, v41, s2
	s_clause 0x1
	global_load_b128 v[32:35], v253, s[8:9] offset:4608
	global_load_b128 v[36:39], v253, s[8:9] offset:5184
	v_add_co_u32 v48, s2, v44, s4
	s_wait_alu 0xf1ff
	v_add_co_ci_u32_e64 v49, s2, s5, v45, s2
	s_clause 0x1
	global_load_b128 v[40:43], v[40:41], off
	global_load_b128 v[44:47], v[44:45], off
	v_add_co_u32 v52, s2, v48, s4
	s_wait_alu 0xf1ff
	v_add_co_ci_u32_e64 v53, s2, s5, v49, s2
	s_delay_alu instid0(VALU_DEP_2) | instskip(SKIP_1) | instid1(VALU_DEP_2)
	v_add_co_u32 v56, s2, v52, s4
	s_wait_alu 0xf1ff
	v_add_co_ci_u32_e64 v57, s2, s5, v53, s2
	s_clause 0x1
	global_load_b128 v[48:51], v[48:49], off
	global_load_b128 v[52:55], v[52:53], off
	v_add_co_u32 v60, s2, v56, s4
	s_wait_alu 0xf1ff
	v_add_co_ci_u32_e64 v61, s2, s5, v57, s2
	global_load_b128 v[56:59], v[56:57], off
	v_add_co_u32 v64, s2, v60, s4
	s_wait_alu 0xf1ff
	v_add_co_ci_u32_e64 v65, s2, s5, v61, s2
	global_load_b128 v[60:63], v[60:61], off
	v_add_co_u32 v68, s2, v64, s4
	s_wait_alu 0xf1ff
	v_add_co_ci_u32_e64 v69, s2, s5, v65, s2
	global_load_b128 v[64:67], v[64:65], off
	v_add_co_u32 v72, s2, v68, s4
	s_wait_alu 0xf1ff
	v_add_co_ci_u32_e64 v73, s2, s5, v69, s2
	global_load_b128 v[68:71], v[68:69], off
	v_add_co_u32 v76, s2, v72, s4
	s_wait_alu 0xf1ff
	v_add_co_ci_u32_e64 v77, s2, s5, v73, s2
	global_load_b128 v[72:75], v[72:73], off
	v_add_co_u32 v80, s2, v76, s4
	s_wait_alu 0xf1ff
	v_add_co_ci_u32_e64 v81, s2, s5, v77, s2
	global_load_b128 v[76:79], v[76:77], off
	v_add_co_u32 v92, s2, v80, s4
	s_wait_alu 0xf1ff
	v_add_co_ci_u32_e64 v93, s2, s5, v81, s2
	global_load_b128 v[80:83], v[80:81], off
	v_add_co_u32 v100, s2, v92, s4
	s_wait_alu 0xf1ff
	v_add_co_ci_u32_e64 v101, s2, s5, v93, s2
	s_clause 0x1
	global_load_b128 v[84:87], v253, s[8:9] offset:5760
	global_load_b128 v[88:91], v253, s[8:9] offset:6336
	global_load_b128 v[92:95], v[92:93], off
	global_load_b128 v[96:99], v253, s[8:9] offset:6912
	global_load_b128 v[100:103], v[100:101], off
	s_wait_loadcnt 0xf
	v_mul_f64_e32 v[104:105], v[42:43], v[2:3]
	v_mul_f64_e32 v[2:3], v[40:41], v[2:3]
	s_wait_loadcnt 0xe
	v_mul_f64_e32 v[106:107], v[46:47], v[6:7]
	v_mul_f64_e32 v[6:7], v[44:45], v[6:7]
	;; [unrolled: 3-line block ×10, first 2 shown]
	v_fma_f64 v[38:39], v[40:41], v[0:1], v[104:105]
	v_fma_f64 v[40:41], v[42:43], v[0:1], -v[2:3]
	v_fma_f64 v[0:1], v[44:45], v[4:5], v[106:107]
	v_fma_f64 v[2:3], v[46:47], v[4:5], -v[6:7]
	s_wait_loadcnt 0x4
	v_mul_f64_e32 v[126:127], v[82:83], v[86:87]
	v_mul_f64_e32 v[86:87], v[80:81], v[86:87]
	s_wait_loadcnt 0x2
	v_mul_f64_e32 v[128:129], v[94:95], v[90:91]
	v_mul_f64_e32 v[90:91], v[92:93], v[90:91]
	;; [unrolled: 3-line block ×3, first 2 shown]
	v_fma_f64 v[4:5], v[48:49], v[8:9], v[108:109]
	v_fma_f64 v[6:7], v[50:51], v[8:9], -v[10:11]
	v_fma_f64 v[8:9], v[52:53], v[12:13], v[110:111]
	v_fma_f64 v[10:11], v[54:55], v[12:13], -v[14:15]
	;; [unrolled: 2-line block ×11, first 2 shown]
	ds_store_b128 v253, v[38:41]
	ds_store_b128 v253, v[0:3] offset:576
	ds_store_b128 v253, v[4:7] offset:1152
	;; [unrolled: 1-line block ×12, first 2 shown]
.LBB0_3:
	s_or_b32 exec_lo, exec_lo, s3
	s_clause 0x1
	s_load_b64 s[4:5], s[0:1], 0x20
	s_load_b64 s[2:3], s[0:1], 0x8
	global_wb scope:SCOPE_SE
	s_wait_dscnt 0x0
	s_wait_kmcnt 0x0
	s_barrier_signal -1
	s_barrier_wait -1
	global_inv scope:SCOPE_SE
                                        ; implicit-def: $vgpr20_vgpr21
                                        ; implicit-def: $vgpr36_vgpr37
                                        ; implicit-def: $vgpr48_vgpr49
                                        ; implicit-def: $vgpr28_vgpr29
                                        ; implicit-def: $vgpr24_vgpr25
                                        ; implicit-def: $vgpr8_vgpr9
                                        ; implicit-def: $vgpr4_vgpr5
                                        ; implicit-def: $vgpr12_vgpr13
                                        ; implicit-def: $vgpr16_vgpr17
                                        ; implicit-def: $vgpr32_vgpr33
                                        ; implicit-def: $vgpr52_vgpr53
                                        ; implicit-def: $vgpr44_vgpr45
                                        ; implicit-def: $vgpr40_vgpr41
	s_and_saveexec_b32 s0, vcc_lo
	s_cbranch_execz .LBB0_5
; %bb.4:
	ds_load_b128 v[20:23], v253
	ds_load_b128 v[40:43], v253 offset:576
	ds_load_b128 v[44:47], v253 offset:1152
	;; [unrolled: 1-line block ×12, first 2 shown]
.LBB0_5:
	s_wait_alu 0xfffe
	s_or_b32 exec_lo, exec_lo, s0
	s_wait_dscnt 0x0
	v_add_f64_e64 v[64:65], v[42:43], -v[6:7]
	v_add_f64_e64 v[60:61], v[40:41], -v[4:5]
	s_mov_b32 s0, 0x4267c47c
	s_mov_b32 s10, 0x42a4c3d2
	;; [unrolled: 1-line block ×8, first 2 shown]
	v_add_f64_e32 v[58:59], v[4:5], v[40:41]
	v_add_f64_e32 v[62:63], v[6:7], v[42:43]
	v_add_f64_e64 v[66:67], v[46:47], -v[10:11]
	v_add_f64_e64 v[56:57], v[44:45], -v[8:9]
	s_mov_b32 s20, 0xe00740e9
	s_mov_b32 s26, 0x1ea71119
	;; [unrolled: 1-line block ×12, first 2 shown]
	v_add_f64_e32 v[177:178], v[8:9], v[44:45]
	v_add_f64_e32 v[207:208], v[10:11], v[46:47]
	v_add_f64_e64 v[205:206], v[38:39], -v[14:15]
	v_add_f64_e64 v[185:186], v[36:37], -v[12:13]
	s_mov_b32 s30, 0x93053d00
	s_mov_b32 s36, 0xd0032e0c
	;; [unrolled: 1-line block ×6, first 2 shown]
	s_wait_alu 0xfffe
	s_mov_b32 s24, s0
	s_mov_b32 s22, s14
	v_mul_f64_e32 v[68:69], s[0:1], v[64:65]
	v_mul_f64_e32 v[70:71], s[0:1], v[60:61]
	;; [unrolled: 1-line block ×8, first 2 shown]
	v_add_f64_e32 v[169:170], v[36:37], v[12:13]
	v_add_f64_e32 v[203:204], v[38:39], v[14:15]
	v_add_f64_e64 v[92:93], v[48:49], -v[16:17]
	v_add_f64_e64 v[171:172], v[50:51], -v[18:19]
	v_mul_f64_e32 v[137:138], s[10:11], v[66:67]
	v_mul_f64_e32 v[147:148], s[10:11], v[56:57]
	;; [unrolled: 1-line block ×8, first 2 shown]
	v_add_f64_e32 v[108:109], v[48:49], v[16:17]
	v_add_f64_e32 v[195:196], v[50:51], v[18:19]
	v_add_f64_e64 v[90:91], v[52:53], -v[24:25]
	v_add_f64_e64 v[149:150], v[54:55], -v[26:27]
	s_mov_b32 s45, 0xbfe5384d
	s_mov_b32 s35, 0x3fefc445
	;; [unrolled: 1-line block ×4, first 2 shown]
	v_mul_f64_e32 v[151:152], s[6:7], v[205:206]
	v_mul_f64_e32 v[159:160], s[6:7], v[185:186]
	;; [unrolled: 1-line block ×8, first 2 shown]
	s_mov_b32 s34, s6
	s_mov_b32 s38, s28
	v_fma_f64 v[0:1], v[58:59], s[20:21], v[68:69]
	v_fma_f64 v[2:3], v[62:63], s[20:21], -v[70:71]
	v_fma_f64 v[72:73], v[58:59], s[26:27], v[84:85]
	v_fma_f64 v[74:75], v[62:63], s[26:27], -v[86:87]
	v_fma_f64 v[76:77], v[58:59], s[18:19], v[199:200]
	v_fma_f64 v[78:79], v[62:63], s[18:19], -v[201:202]
	v_fma_f64 v[80:81], v[58:59], s[16:17], v[209:210]
	v_fma_f64 v[82:83], v[62:63], s[16:17], -v[211:212]
	v_add_f64_e32 v[189:190], v[26:27], v[54:55]
	v_add_f64_e64 v[133:134], v[34:35], -v[30:31]
	v_mul_f64_e32 v[100:101], s[14:15], v[92:93]
	v_mul_f64_e32 v[96:97], s[14:15], v[171:172]
	v_fma_f64 v[88:89], v[177:178], s[26:27], v[137:138]
	v_fma_f64 v[94:95], v[207:208], s[26:27], -v[147:148]
	v_fma_f64 v[98:99], v[177:178], s[16:17], v[165:166]
	v_fma_f64 v[102:103], v[207:208], s[16:17], -v[173:174]
	;; [unrolled: 2-line block ×4, first 2 shown]
	v_mul_f64_e32 v[110:111], s[40:41], v[171:172]
	v_mul_f64_e32 v[116:117], s[40:41], v[92:93]
	;; [unrolled: 1-line block ×8, first 2 shown]
	v_fma_f64 v[120:121], v[169:170], s[18:19], v[151:152]
	v_fma_f64 v[126:127], v[203:204], s[18:19], -v[159:160]
	v_fma_f64 v[135:136], v[169:170], s[30:31], v[167:168]
	v_fma_f64 v[141:142], v[203:204], s[30:31], -v[175:176]
	;; [unrolled: 2-line block ×4, first 2 shown]
	v_mul_f64_e32 v[130:131], s[10:11], v[149:150]
	v_mul_f64_e32 v[139:140], s[10:11], v[90:91]
	v_add_f64_e32 v[0:1], v[20:21], v[0:1]
	v_add_f64_e32 v[2:3], v[22:23], v[2:3]
	;; [unrolled: 1-line block ×8, first 2 shown]
	v_mul_f64_e32 v[145:146], s[38:39], v[149:150]
	v_mul_f64_e32 v[155:156], s[38:39], v[90:91]
	v_fma_f64 v[219:220], v[195:196], s[16:17], -v[100:101]
	v_fma_f64 v[217:218], v[108:109], s[16:17], v[96:97]
	s_mov_b32 s43, 0x3fea55e2
	s_mov_b32 s42, s10
	global_wb scope:SCOPE_SE
	s_barrier_signal -1
	s_barrier_wait -1
	global_inv scope:SCOPE_SE
	v_fma_f64 v[221:222], v[108:109], s[36:37], v[110:111]
	v_fma_f64 v[223:224], v[195:196], s[36:37], -v[116:117]
	v_fma_f64 v[225:226], v[108:109], s[20:21], v[122:123]
	v_fma_f64 v[227:228], v[195:196], s[20:21], -v[128:129]
	;; [unrolled: 2-line block ×3, first 2 shown]
	v_fma_f64 v[235:236], v[189:190], s[18:19], -v[124:125]
	v_fma_f64 v[239:240], v[189:190], s[26:27], -v[139:140]
	v_add_f64_e32 v[0:1], v[88:89], v[0:1]
	v_add_f64_e32 v[2:3], v[94:95], v[2:3]
	;; [unrolled: 1-line block ×9, first 2 shown]
	v_add_f64_e64 v[88:89], v[32:33], -v[28:29]
	v_mul_f64_e32 v[102:103], s[44:45], v[149:150]
	v_mul_f64_e32 v[112:113], s[44:45], v[90:91]
	v_add_f64_e32 v[104:105], v[28:29], v[32:33]
	v_mul_f64_e32 v[98:99], s[28:29], v[133:134]
	v_mul_f64_e32 v[114:115], s[24:25], v[133:134]
	v_fma_f64 v[243:244], v[189:190], s[30:31], -v[155:156]
	v_add_f64_e32 v[0:1], v[120:121], v[0:1]
	v_add_f64_e32 v[2:3], v[126:127], v[2:3]
	;; [unrolled: 1-line block ×9, first 2 shown]
	v_mul_f64_e32 v[106:107], s[28:29], v[88:89]
	v_mul_f64_e32 v[120:121], s[24:25], v[88:89]
	;; [unrolled: 1-line block ×6, first 2 shown]
	v_fma_f64 v[213:214], v[94:95], s[36:37], v[102:103]
	v_fma_f64 v[215:216], v[189:190], s[36:37], -v[112:113]
	v_fma_f64 v[233:234], v[94:95], s[18:19], v[118:119]
	v_fma_f64 v[237:238], v[94:95], s[26:27], v[130:131]
	;; [unrolled: 1-line block ×3, first 2 shown]
	v_add_f64_e32 v[0:1], v[217:218], v[0:1]
	v_add_f64_e32 v[2:3], v[219:220], v[2:3]
	;; [unrolled: 1-line block ×8, first 2 shown]
	v_fma_f64 v[217:218], v[104:105], s[30:31], v[98:99]
	v_fma_f64 v[219:220], v[191:192], s[30:31], -v[106:107]
	v_fma_f64 v[221:222], v[104:105], s[20:21], v[114:115]
	v_fma_f64 v[223:224], v[191:192], s[20:21], -v[120:121]
	;; [unrolled: 2-line block ×4, first 2 shown]
	v_add_f64_e32 v[0:1], v[213:214], v[0:1]
	v_add_f64_e32 v[2:3], v[215:216], v[2:3]
	v_add_f64_e32 v[72:73], v[233:234], v[72:73]
	v_add_f64_e32 v[74:75], v[235:236], v[74:75]
	v_add_f64_e32 v[76:77], v[237:238], v[76:77]
	v_add_f64_e32 v[78:79], v[239:240], v[78:79]
	v_add_f64_e32 v[213:214], v[241:242], v[80:81]
	v_add_f64_e32 v[215:216], v[243:244], v[82:83]
	v_add_f64_e32 v[0:1], v[217:218], v[0:1]
	v_add_f64_e32 v[2:3], v[219:220], v[2:3]
	v_add_f64_e32 v[80:81], v[221:222], v[72:73]
	v_add_f64_e32 v[82:83], v[223:224], v[74:75]
	v_add_f64_e32 v[76:77], v[225:226], v[76:77]
	v_add_f64_e32 v[78:79], v[227:228], v[78:79]
	v_add_f64_e32 v[72:73], v[229:230], v[213:214]
	v_add_f64_e32 v[74:75], v[231:232], v[215:216]
	s_and_saveexec_b32 s33, vcc_lo
	s_cbranch_execz .LBB0_7
; %bb.6:
	v_add_f64_e32 v[42:43], v[22:23], v[42:43]
	v_add_f64_e32 v[40:41], v[20:21], v[40:41]
	v_mul_f64_e32 v[213:214], s[18:19], v[58:59]
	v_mul_f64_e32 v[215:216], s[26:27], v[62:63]
	;; [unrolled: 1-line block ×16, first 2 shown]
	v_add_f64_e32 v[42:43], v[46:47], v[42:43]
	v_add_f64_e32 v[40:41], v[44:45], v[40:41]
	v_mul_f64_e32 v[44:45], s[36:37], v[62:63]
	v_mul_f64_e32 v[46:47], s[44:45], v[64:65]
	v_add_f64_e64 v[84:85], v[217:218], -v[84:85]
	v_add_f64_e64 v[68:69], v[219:220], -v[68:69]
	v_mul_f64_e32 v[217:218], s[18:19], v[169:170]
	v_add_f64_e64 v[165:166], v[227:228], -v[165:166]
	v_mul_f64_e32 v[227:228], s[26:27], v[195:196]
	v_add_f64_e32 v[173:174], v[173:174], v[231:232]
	v_mul_f64_e32 v[219:220], s[16:17], v[108:109]
	v_mul_f64_e32 v[231:232], s[18:19], v[94:95]
	v_add_f64_e64 v[137:138], v[223:224], -v[137:138]
	v_add_f64_e32 v[147:148], v[147:148], v[225:226]
	v_add_f64_e32 v[100:101], v[100:101], v[243:244]
	v_add_f64_e64 v[110:111], v[245:246], -v[110:111]
	v_add_f64_e32 v[116:117], v[116:117], v[247:248]
	v_add_f64_e64 v[122:123], v[249:250], -v[122:123]
	v_add_f64_e32 v[38:39], v[38:39], v[42:43]
	v_add_f64_e32 v[36:37], v[36:37], v[40:41]
	v_mul_f64_e32 v[40:41], s[30:31], v[62:63]
	v_mul_f64_e32 v[42:43], s[28:29], v[64:65]
	;; [unrolled: 1-line block ×3, first 2 shown]
	v_fma_f64 v[239:240], v[60:61], s[40:41], v[44:45]
	v_fma_f64 v[241:242], v[58:59], s[36:37], v[46:47]
	;; [unrolled: 1-line block ×3, first 2 shown]
	v_fma_f64 v[46:47], v[58:59], s[36:37], -v[46:47]
	v_add_f64_e32 v[84:85], v[20:21], v[84:85]
	v_add_f64_e64 v[151:152], v[217:218], -v[151:152]
	v_add_f64_e64 v[96:97], v[219:220], -v[96:97]
	v_mul_f64_e32 v[217:218], s[20:21], v[104:105]
	v_add_f64_e64 v[118:119], v[231:232], -v[118:119]
	v_add_f64_e32 v[38:39], v[50:51], v[38:39]
	v_add_f64_e32 v[36:37], v[48:49], v[36:37]
	v_mul_f64_e32 v[48:49], s[16:17], v[62:63]
	v_mul_f64_e32 v[50:51], s[16:17], v[58:59]
	;; [unrolled: 1-line block ×3, first 2 shown]
	v_fma_f64 v[235:236], v[60:61], s[38:39], v[40:41]
	v_fma_f64 v[237:238], v[58:59], s[30:31], v[42:43]
	;; [unrolled: 1-line block ×3, first 2 shown]
	v_fma_f64 v[42:43], v[58:59], s[30:31], -v[42:43]
	v_add_f64_e32 v[58:59], v[201:202], v[64:65]
	v_add_f64_e64 v[60:61], v[213:214], -v[199:200]
	v_add_f64_e32 v[64:65], v[86:87], v[215:216]
	v_mul_f64_e32 v[86:87], s[36:37], v[207:208]
	v_mul_f64_e32 v[199:200], s[20:21], v[203:204]
	;; [unrolled: 1-line block ×4, first 2 shown]
	v_add_f64_e32 v[239:240], v[22:23], v[239:240]
	v_add_f64_e32 v[241:242], v[20:21], v[241:242]
	;; [unrolled: 1-line block ×4, first 2 shown]
	v_mul_f64_e32 v[201:202], s[16:17], v[169:170]
	v_add_f64_e32 v[38:39], v[54:55], v[38:39]
	v_add_f64_e32 v[36:37], v[52:53], v[36:37]
	v_mul_f64_e32 v[52:53], s[36:37], v[203:204]
	v_mul_f64_e32 v[54:55], s[20:21], v[207:208]
	v_add_f64_e32 v[48:49], v[211:212], v[48:49]
	v_add_f64_e64 v[50:51], v[50:51], -v[209:210]
	v_add_f64_e32 v[62:63], v[70:71], v[62:63]
	v_mul_f64_e32 v[70:71], s[30:31], v[177:178]
	v_mul_f64_e32 v[209:210], s[44:45], v[205:206]
	v_add_f64_e32 v[235:236], v[22:23], v[235:236]
	v_add_f64_e32 v[237:238], v[20:21], v[237:238]
	;; [unrolled: 1-line block ×8, first 2 shown]
	v_mul_f64_e32 v[211:212], s[20:21], v[169:170]
	v_mul_f64_e32 v[205:206], s[10:11], v[205:206]
	v_add_f64_e32 v[197:198], v[197:198], v[199:200]
	v_mul_f64_e32 v[187:188], s[18:19], v[195:196]
	v_add_f64_e32 v[175:176], v[175:176], v[213:214]
	v_add_f64_e64 v[167:168], v[215:216], -v[167:168]
	v_add_f64_e64 v[179:180], v[201:202], -v[179:180]
	v_mul_f64_e32 v[199:200], s[18:19], v[108:109]
	v_mul_f64_e32 v[213:214], s[30:31], v[189:190]
	;; [unrolled: 1-line block ×4, first 2 shown]
	v_add_f64_e32 v[34:35], v[34:35], v[38:39]
	v_add_f64_e32 v[32:33], v[32:33], v[36:37]
	v_mul_f64_e32 v[36:37], s[30:31], v[207:208]
	v_mul_f64_e32 v[38:39], s[36:37], v[177:178]
	v_add_f64_e32 v[48:49], v[22:23], v[48:49]
	v_add_f64_e32 v[50:51], v[20:21], v[50:51]
	;; [unrolled: 1-line block ×4, first 2 shown]
	v_fma_f64 v[62:63], v[185:186], s[40:41], v[52:53]
	v_fma_f64 v[68:69], v[56:57], s[0:1], v[54:55]
	v_mul_f64_e32 v[207:208], s[16:17], v[203:204]
	v_add_f64_e64 v[70:71], v[70:71], -v[163:164]
	v_mul_f64_e32 v[203:204], s[18:19], v[203:204]
	v_mul_f64_e32 v[163:164], s[42:43], v[171:172]
	v_fma_f64 v[225:226], v[169:170], s[36:37], v[209:210]
	v_fma_f64 v[209:210], v[169:170], s[36:37], -v[209:210]
	v_mul_f64_e32 v[171:172], s[38:39], v[171:172]
	v_add_f64_e64 v[193:194], v[211:212], -v[193:194]
	v_fma_f64 v[223:224], v[169:170], s[26:27], v[205:206]
	v_fma_f64 v[169:170], v[169:170], s[26:27], -v[205:206]
	v_add_f64_e32 v[153:154], v[153:154], v[187:188]
	v_mul_f64_e32 v[205:206], s[26:27], v[94:95]
	v_mul_f64_e32 v[211:212], s[36:37], v[94:95]
	v_add_f64_e64 v[143:144], v[199:200], -v[143:144]
	v_add_f64_e64 v[98:99], v[215:216], -v[98:99]
	v_add_f64_e32 v[30:31], v[30:31], v[34:35]
	v_add_f64_e32 v[28:29], v[28:29], v[32:33]
	v_fma_f64 v[32:33], v[177:178], s[20:21], v[221:222]
	v_fma_f64 v[34:35], v[185:186], s[44:45], v[52:53]
	;; [unrolled: 1-line block ×3, first 2 shown]
	v_fma_f64 v[54:55], v[177:178], s[20:21], -v[221:222]
	v_fma_f64 v[221:222], v[185:186], s[42:43], v[229:230]
	v_fma_f64 v[185:186], v[185:186], s[10:11], v[229:230]
	;; [unrolled: 1-line block ×4, first 2 shown]
	v_add_f64_e32 v[36:37], v[181:182], v[36:37]
	v_add_f64_e64 v[38:39], v[38:39], -v[161:162]
	v_fma_f64 v[233:234], v[177:178], s[18:19], v[66:67]
	v_fma_f64 v[66:67], v[177:178], s[18:19], -v[66:67]
	v_mul_f64_e32 v[177:178], s[20:21], v[195:196]
	v_mul_f64_e32 v[195:196], s[30:31], v[195:196]
	v_add_f64_e32 v[48:49], v[86:87], v[48:49]
	v_add_f64_e32 v[183:184], v[183:184], v[207:208]
	;; [unrolled: 1-line block ×7, first 2 shown]
	v_mul_f64_e32 v[161:162], s[18:19], v[189:190]
	v_mul_f64_e32 v[70:71], s[20:21], v[189:190]
	v_fma_f64 v[86:87], v[92:93], s[10:11], v[227:228]
	v_fma_f64 v[137:138], v[108:109], s[26:27], v[163:164]
	;; [unrolled: 1-line block ×3, first 2 shown]
	v_mul_f64_e32 v[207:208], s[26:27], v[189:190]
	v_mul_f64_e32 v[181:182], s[36:37], v[189:190]
	v_mul_f64_e32 v[235:236], s[20:21], v[191:192]
	v_add_f64_e64 v[130:131], v[205:206], -v[130:131]
	v_mul_f64_e32 v[203:204], s[30:31], v[191:192]
	v_add_f64_e64 v[102:103], v[211:212], -v[102:103]
	v_add_f64_e32 v[26:27], v[26:27], v[30:31]
	v_add_f64_e32 v[24:25], v[24:25], v[28:29]
	v_add_f64_e32 v[32:33], v[32:33], v[237:238]
	v_mul_f64_e32 v[28:29], s[16:17], v[189:190]
	v_add_f64_e32 v[40:41], v[52:53], v[40:41]
	v_add_f64_e32 v[42:43], v[54:55], v[42:43]
	v_mul_f64_e32 v[30:31], s[14:15], v[149:150]
	v_mul_f64_e32 v[237:238], s[36:37], v[104:105]
	v_mul_f64_e32 v[52:53], s[36:37], v[191:192]
	v_add_f64_e32 v[44:45], v[56:57], v[44:45]
	v_add_f64_e32 v[36:37], v[36:37], v[58:59]
	;; [unrolled: 1-line block ×8, first 2 shown]
	v_mul_f64_e32 v[84:85], s[24:25], v[149:150]
	v_fma_f64 v[149:150], v[108:109], s[26:27], -v[163:164]
	v_fma_f64 v[163:164], v[92:93], s[28:29], v[195:196]
	v_fma_f64 v[92:93], v[92:93], s[38:39], v[195:196]
	v_add_f64_e32 v[128:129], v[128:129], v[177:178]
	v_add_f64_e32 v[60:61], v[179:180], v[60:61]
	v_fma_f64 v[165:166], v[108:109], s[30:31], v[171:172]
	v_fma_f64 v[108:109], v[108:109], s[30:31], -v[171:172]
	v_add_f64_e32 v[62:63], v[62:63], v[68:69]
	v_add_f64_e32 v[22:23], v[159:160], v[22:23]
	;; [unrolled: 1-line block ×3, first 2 shown]
	v_mul_f64_e32 v[68:69], s[14:15], v[133:134]
	v_fma_f64 v[159:160], v[90:91], s[0:1], v[70:71]
	v_fma_f64 v[70:71], v[90:91], s[24:25], v[70:71]
	v_add_f64_e32 v[124:125], v[124:125], v[161:162]
	v_add_f64_e32 v[139:140], v[139:140], v[207:208]
	v_mul_f64_e32 v[54:55], s[26:27], v[104:105]
	v_mul_f64_e32 v[56:57], s[26:27], v[191:192]
	v_add_f64_e32 v[112:113], v[112:113], v[181:182]
	v_add_f64_e32 v[18:19], v[18:19], v[26:27]
	;; [unrolled: 1-line block ×4, first 2 shown]
	v_mul_f64_e32 v[24:25], s[18:19], v[191:192]
	v_add_f64_e32 v[34:35], v[34:35], v[40:41]
	v_add_f64_e32 v[40:41], v[209:210], v[42:43]
	v_mul_f64_e32 v[26:27], s[34:35], v[133:134]
	v_fma_f64 v[133:134], v[90:91], s[22:23], v[28:29]
	v_fma_f64 v[151:152], v[94:95], s[16:17], v[30:31]
	v_add_f64_e32 v[42:43], v[185:186], v[44:45]
	v_add_f64_e32 v[44:45], v[197:198], v[48:49]
	;; [unrolled: 1-line block ×9, first 2 shown]
	v_fma_f64 v[28:29], v[90:91], s[14:15], v[28:29]
	v_fma_f64 v[30:31], v[94:95], s[16:17], -v[30:31]
	v_add_f64_e32 v[90:91], v[155:156], v[213:214]
	v_mul_f64_e32 v[66:67], s[16:17], v[191:192]
	v_add_f64_e32 v[60:61], v[122:123], v[60:61]
	v_fma_f64 v[167:168], v[94:95], s[20:21], v[84:85]
	v_fma_f64 v[84:85], v[94:95], s[20:21], -v[84:85]
	v_add_f64_e64 v[94:95], v[201:202], -v[145:146]
	v_add_f64_e32 v[62:63], v[86:87], v[62:63]
	v_add_f64_e32 v[22:23], v[100:101], v[22:23]
	v_add_f64_e64 v[100:101], v[217:218], -v[114:115]
	v_add_f64_e32 v[52:53], v[135:136], v[52:53]
	v_add_f64_e64 v[54:55], v[54:55], -v[141:142]
	v_add_f64_e32 v[56:57], v[157:158], v[56:57]
	v_add_f64_e32 v[14:15], v[14:15], v[18:19]
	;; [unrolled: 1-line block ×7, first 2 shown]
	v_fma_f64 v[18:19], v[88:89], s[6:7], v[24:25]
	v_fma_f64 v[20:21], v[104:105], s[18:19], v[26:27]
	;; [unrolled: 1-line block ×3, first 2 shown]
	v_add_f64_e32 v[42:43], v[92:93], v[42:43]
	v_add_f64_e32 v[44:45], v[153:154], v[44:45]
	;; [unrolled: 1-line block ×9, first 2 shown]
	v_fma_f64 v[26:27], v[104:105], s[18:19], -v[26:27]
	v_add_f64_e32 v[96:97], v[120:121], v[235:236]
	v_fma_f64 v[92:93], v[104:105], s[16:17], v[68:69]
	v_fma_f64 v[86:87], v[88:89], s[22:23], v[66:67]
	v_fma_f64 v[66:67], v[88:89], s[14:15], v[66:67]
	v_add_f64_e64 v[88:89], v[237:238], -v[126:127]
	v_fma_f64 v[68:69], v[104:105], s[16:17], -v[68:69]
	v_add_f64_e32 v[104:105], v[106:107], v[203:204]
	v_add_f64_e32 v[62:63], v[133:134], v[62:63]
	;; [unrolled: 1-line block ×37, first 2 shown]
	v_mul_lo_u16 v40, v254, 13
	s_delay_alu instid0(VALU_DEP_1) | instskip(NEXT) | instid1(VALU_DEP_1)
	v_and_b32_e32 v40, 0xffff, v40
	v_lshlrev_b32_e32 v40, 4, v40
	ds_store_b128 v40, v[76:79] offset:160
	ds_store_b128 v40, v[80:83] offset:176
	;; [unrolled: 1-line block ×10, first 2 shown]
	ds_store_b128 v40, v[4:7]
	ds_store_b128 v40, v[36:39] offset:16
	ds_store_b128 v40, v[0:3] offset:192
.LBB0_7:
	s_or_b32 exec_lo, exec_lo, s33
	v_and_b32_e32 v4, 0xff, v254
	s_load_b128 s[4:7], s[4:5], 0x0
	global_wb scope:SCOPE_SE
	s_wait_dscnt 0x0
	s_wait_kmcnt 0x0
	s_barrier_signal -1
	s_barrier_wait -1
	v_mul_lo_u16 v4, 0x4f, v4
	global_inv scope:SCOPE_SE
	s_mov_b32 s0, 0x8c811c17
	s_mov_b32 s14, 0xa2cf5039
	;; [unrolled: 1-line block ×3, first 2 shown]
	v_lshrrev_b16 v133, 10, v4
	s_mov_b32 s10, 0x523c161c
	s_mov_b32 s1, 0x3fef838b
	;; [unrolled: 1-line block ×4, first 2 shown]
	v_mul_lo_u16 v4, v133, 13
	s_mov_b32 s17, 0xbfee11f6
	s_delay_alu instid0(VALU_DEP_1) | instskip(NEXT) | instid1(VALU_DEP_1)
	v_sub_nc_u16 v4, v254, v4
	v_and_b32_e32 v134, 0xff, v4
	s_delay_alu instid0(VALU_DEP_1)
	v_lshlrev_b32_e32 v4, 7, v134
	s_clause 0x7
	global_load_b128 v[12:15], v4, s[2:3]
	global_load_b128 v[36:39], v4, s[2:3] offset:112
	global_load_b128 v[32:35], v4, s[2:3] offset:16
	;; [unrolled: 1-line block ×7, first 2 shown]
	ds_load_b128 v[20:23], v253 offset:832
	ds_load_b128 v[24:27], v253 offset:6656
	;; [unrolled: 1-line block ×7, first 2 shown]
	s_wait_loadcnt_dscnt 0x706
	v_mul_f64_e32 v[64:65], v[22:23], v[14:15]
	v_mul_f64_e32 v[66:67], v[20:21], v[14:15]
	s_wait_loadcnt_dscnt 0x605
	v_mul_f64_e32 v[68:69], v[26:27], v[38:39]
	v_mul_f64_e32 v[70:71], v[24:25], v[38:39]
	;; [unrolled: 3-line block ×3, first 2 shown]
	s_wait_loadcnt_dscnt 0x403
	v_mul_f64_e32 v[88:89], v[50:51], v[18:19]
	s_wait_loadcnt_dscnt 0x302
	v_mul_f64_e32 v[90:91], v[54:55], v[46:47]
	v_mul_f64_e32 v[92:93], v[48:49], v[18:19]
	;; [unrolled: 1-line block ×3, first 2 shown]
	s_wait_loadcnt_dscnt 0x201
	v_mul_f64_e32 v[96:97], v[58:59], v[42:43]
	v_mul_f64_e32 v[98:99], v[56:57], v[42:43]
	v_fma_f64 v[64:65], v[20:21], v[12:13], -v[64:65]
	v_fma_f64 v[66:67], v[22:23], v[12:13], v[66:67]
	v_fma_f64 v[24:25], v[24:25], v[36:37], -v[68:69]
	v_fma_f64 v[26:27], v[26:27], v[36:37], v[70:71]
	;; [unrolled: 2-line block ×3, first 2 shown]
	v_fma_f64 v[48:49], v[48:49], v[16:17], -v[88:89]
	v_fma_f64 v[52:53], v[52:53], v[44:45], -v[90:91]
	v_fma_f64 v[50:51], v[50:51], v[16:17], v[92:93]
	v_fma_f64 v[54:55], v[54:55], v[44:45], v[94:95]
	v_fma_f64 v[56:57], v[56:57], v[40:41], -v[96:97]
	v_fma_f64 v[58:59], v[58:59], v[40:41], v[98:99]
	ds_load_b128 v[20:23], v253 offset:4992
	s_wait_loadcnt_dscnt 0x101
	v_mul_f64_e32 v[68:69], v[62:63], v[10:11]
	v_mul_f64_e32 v[70:71], v[60:61], v[10:11]
	v_add_f64_e64 v[88:89], v[64:65], -v[24:25]
	v_add_f64_e64 v[90:91], v[66:67], -v[26:27]
	v_add_f64_e32 v[64:65], v[64:65], v[24:25]
	v_add_f64_e32 v[66:67], v[66:67], v[26:27]
	ds_load_b128 v[24:27], v253
	s_wait_loadcnt_dscnt 0x1
	v_mul_f64_e32 v[84:85], v[22:23], v[6:7]
	v_mul_f64_e32 v[86:87], v[20:21], v[6:7]
	v_add_f64_e32 v[92:93], v[48:49], v[52:53]
	v_add_f64_e64 v[94:95], v[48:49], -v[52:53]
	v_add_f64_e64 v[96:97], v[50:51], -v[54:55]
	v_add_f64_e32 v[98:99], v[28:29], v[56:57]
	v_add_f64_e32 v[100:101], v[30:31], v[58:59]
	;; [unrolled: 1-line block ×3, first 2 shown]
	v_fma_f64 v[60:61], v[60:61], v[8:9], -v[68:69]
	v_fma_f64 v[62:63], v[62:63], v[8:9], v[70:71]
	v_add_f64_e64 v[28:29], v[28:29], -v[56:57]
	v_add_f64_e64 v[30:31], v[30:31], -v[58:59]
	global_wb scope:SCOPE_SE
	s_wait_dscnt 0x0
	s_barrier_signal -1
	s_barrier_wait -1
	global_inv scope:SCOPE_SE
	s_wait_alu 0xfffe
	v_mul_f64_e32 v[56:57], s[10:11], v[88:89]
	v_mul_f64_e32 v[58:59], s[10:11], v[90:91]
	v_fma_f64 v[68:69], v[64:65], s[14:15], v[24:25]
	v_fma_f64 v[70:71], v[66:67], s[14:15], v[26:27]
	s_mov_b32 s11, 0xbfe491b7
	v_fma_f64 v[20:21], v[20:21], v[4:5], -v[84:85]
	v_fma_f64 v[22:23], v[22:23], v[4:5], v[86:87]
	v_fma_f64 v[84:85], v[92:93], s[14:15], v[24:25]
	v_mul_f64_e32 v[86:87], s[0:1], v[94:95]
	v_mul_f64_e32 v[104:105], s[0:1], v[96:97]
	v_fma_f64 v[106:107], v[98:99], s[14:15], v[24:25]
	v_fma_f64 v[108:109], v[100:101], s[14:15], v[26:27]
	v_fma_f64 v[110:111], v[102:103], s[14:15], v[26:27]
	s_wait_alu 0xfffe
	v_mul_f64_e32 v[112:113], s[10:11], v[96:97]
	v_mul_f64_e32 v[114:115], s[10:11], v[94:95]
	v_add_f64_e32 v[120:121], v[98:99], v[64:65]
	v_add_f64_e32 v[122:123], v[100:101], v[66:67]
	s_mov_b32 s14, 0x7e0b738b
	s_mov_b32 s15, 0x3fc63a1a
	v_fma_f64 v[56:57], v[28:29], s[0:1], v[56:57]
	v_fma_f64 v[58:59], v[30:31], s[0:1], v[58:59]
	v_add_f64_e32 v[116:117], v[60:61], v[20:21]
	v_add_f64_e32 v[118:119], v[62:63], v[22:23]
	v_add_f64_e64 v[20:21], v[60:61], -v[20:21]
	v_add_f64_e64 v[22:23], v[62:63], -v[22:23]
	s_wait_alu 0xfffe
	v_fma_f64 v[60:61], v[98:99], s[14:15], v[68:69]
	v_fma_f64 v[62:63], v[100:101], s[14:15], v[70:71]
	;; [unrolled: 1-line block ×3, first 2 shown]
	v_fma_f64 v[70:71], v[28:29], s[10:11], -v[86:87]
	v_fma_f64 v[84:85], v[30:31], s[10:11], -v[104:105]
	v_fma_f64 v[86:87], v[92:93], s[14:15], v[106:107]
	v_fma_f64 v[104:105], v[102:103], s[14:15], v[108:109]
	;; [unrolled: 1-line block ×5, first 2 shown]
	v_add_f64_e32 v[128:129], v[92:93], v[120:121]
	v_add_f64_e32 v[130:131], v[102:103], v[122:123]
	s_mov_b32 s0, 0xe8584cab
	s_mov_b32 s1, 0x3febb67a
	;; [unrolled: 1-line block ×3, first 2 shown]
	s_wait_alu 0xfffe
	s_mov_b32 s10, s0
	v_add_f64_e32 v[112:113], v[94:95], v[88:89]
	v_add_f64_e32 v[114:115], v[96:97], v[90:91]
	s_mov_b32 s14, 0x748a0bf8
	s_mov_b32 s15, 0x3fd5e3a8
	v_add_f64_e32 v[120:121], v[116:117], v[120:121]
	v_add_f64_e32 v[122:123], v[118:119], v[122:123]
	v_fma_f64 v[56:57], v[20:21], s[0:1], v[56:57]
	v_fma_f64 v[58:59], v[22:23], s[0:1], v[58:59]
	v_fma_f64 v[60:61], v[116:117], -0.5, v[60:61]
	v_fma_f64 v[62:63], v[118:119], -0.5, v[62:63]
	v_fma_f64 v[68:69], v[116:117], -0.5, v[68:69]
	v_fma_f64 v[70:71], v[20:21], s[0:1], v[70:71]
	v_fma_f64 v[84:85], v[22:23], s[0:1], v[84:85]
	v_fma_f64 v[86:87], v[116:117], -0.5, v[86:87]
	v_fma_f64 v[104:105], v[118:119], -0.5, v[104:105]
	v_add_f64_e32 v[124:125], v[24:25], v[116:117]
	v_add_f64_e32 v[126:127], v[26:27], v[118:119]
	v_fma_f64 v[106:107], v[118:119], -0.5, v[106:107]
	s_wait_alu 0xfffe
	v_fma_f64 v[22:23], v[22:23], s[10:11], v[108:109]
	v_fma_f64 v[20:21], v[20:21], s[10:11], v[110:111]
	v_add_f64_e64 v[108:109], v[112:113], -v[28:29]
	v_add_f64_e64 v[110:111], v[114:115], -v[30:31]
	v_add_f64_e32 v[48:49], v[48:49], v[120:121]
	v_add_f64_e32 v[50:51], v[50:51], v[122:123]
	v_fma_f64 v[94:95], v[94:95], s[14:15], v[56:57]
	v_fma_f64 v[96:97], v[96:97], s[14:15], v[58:59]
	;; [unrolled: 1-line block ×9, first 2 shown]
	v_fma_f64 v[112:113], v[128:129], -0.5, v[124:125]
	v_fma_f64 v[114:115], v[130:131], -0.5, v[126:127]
	v_fma_f64 v[70:71], v[100:101], s[16:17], v[106:107]
	v_fma_f64 v[88:89], v[30:31], s[14:15], v[22:23]
	;; [unrolled: 1-line block ×3, first 2 shown]
	v_mul_f64_e32 v[84:85], s[0:1], v[108:109]
	v_mul_f64_e32 v[86:87], s[0:1], v[110:111]
	v_add_f64_e32 v[92:93], v[52:53], v[48:49]
	v_add_f64_e32 v[98:99], v[54:55], v[50:51]
	;; [unrolled: 1-line block ×3, first 2 shown]
	v_add_f64_e64 v[30:31], v[58:59], -v[94:95]
	v_add_f64_e32 v[48:49], v[68:69], v[64:65]
	v_add_f64_e64 v[50:51], v[66:67], -v[62:63]
	v_fma_f64 v[20:21], v[110:111], s[0:1], v[112:113]
	v_fma_f64 v[22:23], v[108:109], s[10:11], v[114:115]
	v_cmp_gt_u16_e64 s0, 13, v254
	v_add_f64_e32 v[52:53], v[88:89], v[60:61]
	v_add_f64_e64 v[54:55], v[70:71], -v[90:91]
	v_add_f64_e32 v[24:25], v[24:25], v[92:93]
	v_add_f64_e32 v[26:27], v[26:27], v[98:99]
	v_fma_f64 v[60:61], v[68:69], -2.0, v[48:49]
	v_fma_f64 v[62:63], v[62:63], 2.0, v[50:51]
	v_fma_f64 v[56:57], v[86:87], -2.0, v[20:21]
	v_fma_f64 v[58:59], v[84:85], 2.0, v[22:23]
	;; [unrolled: 2-line block ×4, first 2 shown]
	v_and_b32_e32 v68, 0xffff, v133
	s_delay_alu instid0(VALU_DEP_1) | instskip(NEXT) | instid1(VALU_DEP_1)
	v_mul_u32_u24_e32 v68, 0x75, v68
	v_add_lshl_u32 v255, v68, v134, 4
	ds_store_b128 v255, v[24:27]
	ds_store_b128 v255, v[28:31] offset:208
	ds_store_b128 v255, v[52:55] offset:416
	;; [unrolled: 1-line block ×8, first 2 shown]
	global_wb scope:SCOPE_SE
	s_wait_dscnt 0x0
	s_barrier_signal -1
	s_barrier_wait -1
	global_inv scope:SCOPE_SE
	ds_load_b128 v[88:91], v253
	ds_load_b128 v[92:95], v253 offset:832
	ds_load_b128 v[108:111], v253 offset:1872
	;; [unrolled: 1-line block ×7, first 2 shown]
	s_and_saveexec_b32 s1, s0
	s_cbranch_execz .LBB0_9
; %bb.8:
	ds_load_b128 v[84:87], v253 offset:1664
	ds_load_b128 v[72:75], v253 offset:3536
	;; [unrolled: 1-line block ×4, first 2 shown]
.LBB0_9:
	s_wait_alu 0xfffe
	s_or_b32 exec_lo, exec_lo, s1
	v_add_nc_u32_e32 v22, 0x68, v254
	v_add_nc_u32_e32 v23, -13, v254
	v_mad_co_u64_u32 v[20:21], null, v254, 48, s[2:3]
	s_clause 0x1
	global_load_b128 v[48:51], v[20:21], off offset:1680
	global_load_b128 v[64:67], v[20:21], off offset:1664
	v_cndmask_b32_e64 v22, v23, v22, s0
	s_clause 0x1
	global_load_b128 v[60:63], v[20:21], off offset:1696
	global_load_b128 v[56:59], v[20:21], off offset:4160
	v_mul_i32_i24_e32 v23, 48, v22
	v_mul_hi_i32_i24_e32 v24, 48, v22
	s_delay_alu instid0(VALU_DEP_2) | instskip(SKIP_1) | instid1(VALU_DEP_2)
	v_add_co_u32 v22, s1, s2, v23
	s_wait_alu 0xf1ff
	v_add_co_ci_u32_e64 v23, s1, s3, v24, s1
	s_clause 0x4
	global_load_b128 v[68:71], v[20:21], off offset:4176
	global_load_b128 v[52:55], v[20:21], off offset:4192
	;; [unrolled: 1-line block ×5, first 2 shown]
	s_wait_loadcnt_dscnt 0x803
	v_mul_f64_e32 v[124:125], v[114:115], v[50:51]
	s_wait_loadcnt 0x7
	v_mul_f64_e32 v[120:121], v[110:111], v[66:67]
	v_mul_f64_e32 v[122:123], v[108:109], v[66:67]
	;; [unrolled: 1-line block ×3, first 2 shown]
	s_wait_loadcnt_dscnt 0x601
	v_mul_f64_e32 v[128:129], v[118:119], v[62:63]
	v_mul_f64_e32 v[130:131], v[116:117], v[62:63]
	s_wait_loadcnt 0x5
	v_mul_f64_e32 v[133:134], v[98:99], v[58:59]
	v_mul_f64_e32 v[135:136], v[96:97], v[58:59]
	s_wait_loadcnt 0x4
	v_mul_f64_e32 v[137:138], v[102:103], v[70:71]
	v_mul_f64_e32 v[139:140], v[100:101], v[70:71]
	s_wait_loadcnt_dscnt 0x300
	v_mul_f64_e32 v[141:142], v[106:107], v[54:55]
	v_mul_f64_e32 v[143:144], v[104:105], v[54:55]
	s_wait_loadcnt 0x2
	v_mul_f64_e32 v[145:146], v[74:75], v[30:31]
	v_mul_f64_e32 v[147:148], v[72:73], v[30:31]
	s_wait_loadcnt 0x1
	;; [unrolled: 3-line block ×3, first 2 shown]
	v_mul_f64_e32 v[153:154], v[82:83], v[22:23]
	v_mul_f64_e32 v[155:156], v[80:81], v[22:23]
	v_fma_f64 v[112:113], v[112:113], v[48:49], -v[124:125]
	v_fma_f64 v[108:109], v[108:109], v[64:65], -v[120:121]
	v_fma_f64 v[110:111], v[110:111], v[64:65], v[122:123]
	v_fma_f64 v[114:115], v[114:115], v[48:49], v[126:127]
	v_fma_f64 v[116:117], v[116:117], v[60:61], -v[128:129]
	v_fma_f64 v[118:119], v[118:119], v[60:61], v[130:131]
	v_fma_f64 v[96:97], v[96:97], v[56:57], -v[133:134]
	;; [unrolled: 2-line block ×7, first 2 shown]
	v_fma_f64 v[82:83], v[82:83], v[20:21], v[155:156]
	v_add_f64_e64 v[124:125], v[88:89], -v[112:113]
	v_add_f64_e64 v[126:127], v[90:91], -v[114:115]
	;; [unrolled: 1-line block ×12, first 2 shown]
	v_fma_f64 v[128:129], v[88:89], 2.0, -v[124:125]
	v_fma_f64 v[130:131], v[90:91], 2.0, -v[126:127]
	;; [unrolled: 1-line block ×4, first 2 shown]
	v_add_f64_e64 v[120:121], v[124:125], -v[114:115]
	v_add_f64_e32 v[122:123], v[126:127], v[112:113]
	v_fma_f64 v[92:93], v[92:93], 2.0, -v[100:101]
	v_fma_f64 v[94:95], v[94:95], 2.0, -v[102:103]
	v_fma_f64 v[90:91], v[96:97], 2.0, -v[116:117]
	v_fma_f64 v[96:97], v[98:99], 2.0, -v[104:105]
	v_add_f64_e64 v[104:105], v[100:101], -v[104:105]
	v_add_f64_e32 v[106:107], v[102:103], v[116:117]
	v_fma_f64 v[84:85], v[84:85], 2.0, -v[76:77]
	v_fma_f64 v[86:87], v[86:87], 2.0, -v[78:79]
	;; [unrolled: 1-line block ×4, first 2 shown]
	v_add_f64_e64 v[80:81], v[76:77], -v[80:81]
	v_add_f64_e64 v[112:113], v[128:129], -v[82:83]
	v_add_f64_e64 v[114:115], v[130:131], -v[88:89]
	v_add_f64_e32 v[82:83], v[78:79], v[118:119]
	v_fma_f64 v[116:117], v[124:125], 2.0, -v[120:121]
	v_fma_f64 v[118:119], v[126:127], 2.0, -v[122:123]
	v_add_f64_e64 v[108:109], v[92:93], -v[90:91]
	v_add_f64_e64 v[110:111], v[94:95], -v[96:97]
	v_fma_f64 v[124:125], v[100:101], 2.0, -v[104:105]
	v_fma_f64 v[126:127], v[102:103], 2.0, -v[106:107]
	v_add_f64_e64 v[88:89], v[84:85], -v[72:73]
	v_add_f64_e64 v[90:91], v[86:87], -v[74:75]
	v_fma_f64 v[96:97], v[76:77], 2.0, -v[80:81]
	v_fma_f64 v[72:73], v[128:129], 2.0, -v[112:113]
	;; [unrolled: 1-line block ×6, first 2 shown]
	ds_store_b128 v253, v[72:75]
	ds_store_b128 v253, v[128:131] offset:832
	ds_store_b128 v253, v[116:119] offset:1872
	;; [unrolled: 1-line block ×7, first 2 shown]
	v_fma_f64 v[100:101], v[84:85], 2.0, -v[88:89]
	v_fma_f64 v[102:103], v[86:87], 2.0, -v[90:91]
	s_and_saveexec_b32 s1, s0
	s_cbranch_execz .LBB0_11
; %bb.10:
	ds_store_b128 v253, v[100:103] offset:1664
	ds_store_b128 v253, v[96:99] offset:3536
	;; [unrolled: 1-line block ×4, first 2 shown]
.LBB0_11:
	s_wait_alu 0xfffe
	s_or_b32 exec_lo, exec_lo, s1
	global_wb scope:SCOPE_SE
	s_wait_dscnt 0x0
	s_barrier_signal -1
	s_barrier_wait -1
	global_inv scope:SCOPE_SE
	s_and_saveexec_b32 s1, vcc_lo
	s_cbranch_execz .LBB0_13
; %bb.12:
	global_load_b128 v[76:79], v253, s[8:9] offset:7488
	s_add_nc_u64 s[2:3], s[8:9], 0x1d40
	s_clause 0x3
	global_load_b128 v[84:87], v253, s[2:3] offset:576
	global_load_b128 v[92:95], v253, s[2:3] offset:1152
	;; [unrolled: 1-line block ×4, first 2 shown]
	ds_load_b128 v[141:144], v253
	ds_load_b128 v[145:148], v253 offset:576
	ds_load_b128 v[149:152], v253 offset:6912
	s_wait_loadcnt_dscnt 0x301
	v_mul_f64_e32 v[157:158], v[147:148], v[86:87]
	v_mul_f64_e32 v[153:154], v[143:144], v[78:79]
	;; [unrolled: 1-line block ×4, first 2 shown]
	s_delay_alu instid0(VALU_DEP_4) | instskip(NEXT) | instid1(VALU_DEP_4)
	v_fma_f64 v[145:146], v[145:146], v[84:85], -v[157:158]
	v_fma_f64 v[141:142], v[141:142], v[76:77], -v[153:154]
	s_delay_alu instid0(VALU_DEP_4)
	v_fma_f64 v[143:144], v[143:144], v[76:77], v[78:79]
	ds_load_b128 v[76:79], v253 offset:1152
	ds_load_b128 v[153:156], v253 offset:1728
	v_fma_f64 v[147:148], v[147:148], v[84:85], v[86:87]
	s_wait_loadcnt_dscnt 0x201
	v_mul_f64_e32 v[84:85], v[78:79], v[94:95]
	v_mul_f64_e32 v[86:87], v[76:77], v[94:95]
	s_wait_loadcnt_dscnt 0x100
	v_mul_f64_e32 v[157:158], v[155:156], v[135:136]
	v_mul_f64_e32 v[135:136], v[153:154], v[135:136]
	s_delay_alu instid0(VALU_DEP_4) | instskip(NEXT) | instid1(VALU_DEP_4)
	v_fma_f64 v[76:77], v[76:77], v[92:93], -v[84:85]
	v_fma_f64 v[78:79], v[78:79], v[92:93], v[86:87]
	ds_load_b128 v[92:95], v253 offset:2304
	global_load_b128 v[84:87], v253, s[2:3] offset:2880
	v_fma_f64 v[153:154], v[153:154], v[133:134], -v[157:158]
	v_fma_f64 v[155:156], v[155:156], v[133:134], v[135:136]
	ds_load_b128 v[133:136], v253 offset:2880
	s_wait_loadcnt_dscnt 0x101
	v_mul_f64_e32 v[157:158], v[94:95], v[139:140]
	v_mul_f64_e32 v[139:140], v[92:93], v[139:140]
	s_delay_alu instid0(VALU_DEP_2) | instskip(NEXT) | instid1(VALU_DEP_2)
	v_fma_f64 v[92:93], v[92:93], v[137:138], -v[157:158]
	v_fma_f64 v[94:95], v[94:95], v[137:138], v[139:140]
	global_load_b128 v[137:140], v253, s[2:3] offset:3456
	s_wait_loadcnt_dscnt 0x100
	v_mul_f64_e32 v[157:158], v[135:136], v[86:87]
	v_mul_f64_e32 v[86:87], v[133:134], v[86:87]
	s_delay_alu instid0(VALU_DEP_2) | instskip(NEXT) | instid1(VALU_DEP_2)
	v_fma_f64 v[133:134], v[133:134], v[84:85], -v[157:158]
	v_fma_f64 v[135:136], v[135:136], v[84:85], v[86:87]
	ds_load_b128 v[84:87], v253 offset:3456
	ds_load_b128 v[157:160], v253 offset:4032
	s_wait_loadcnt_dscnt 0x1
	v_mul_f64_e32 v[161:162], v[86:87], v[139:140]
	v_mul_f64_e32 v[139:140], v[84:85], v[139:140]
	s_delay_alu instid0(VALU_DEP_2) | instskip(NEXT) | instid1(VALU_DEP_2)
	v_fma_f64 v[84:85], v[84:85], v[137:138], -v[161:162]
	v_fma_f64 v[86:87], v[86:87], v[137:138], v[139:140]
	s_clause 0x1
	global_load_b128 v[137:140], v253, s[2:3] offset:4032
	global_load_b128 v[161:164], v253, s[2:3] offset:4608
	s_wait_loadcnt_dscnt 0x100
	v_mul_f64_e32 v[165:166], v[159:160], v[139:140]
	v_mul_f64_e32 v[139:140], v[157:158], v[139:140]
	s_delay_alu instid0(VALU_DEP_2) | instskip(NEXT) | instid1(VALU_DEP_2)
	v_fma_f64 v[157:158], v[157:158], v[137:138], -v[165:166]
	v_fma_f64 v[159:160], v[159:160], v[137:138], v[139:140]
	ds_load_b128 v[137:140], v253 offset:4608
	ds_load_b128 v[165:168], v253 offset:5184
	s_wait_loadcnt_dscnt 0x1
	v_mul_f64_e32 v[169:170], v[139:140], v[163:164]
	v_mul_f64_e32 v[163:164], v[137:138], v[163:164]
	s_delay_alu instid0(VALU_DEP_2) | instskip(NEXT) | instid1(VALU_DEP_2)
	v_fma_f64 v[137:138], v[137:138], v[161:162], -v[169:170]
	v_fma_f64 v[139:140], v[139:140], v[161:162], v[163:164]
	s_clause 0x1
	global_load_b128 v[161:164], v253, s[2:3] offset:5184
	global_load_b128 v[169:172], v253, s[2:3] offset:5760
	s_wait_loadcnt_dscnt 0x100
	v_mul_f64_e32 v[173:174], v[167:168], v[163:164]
	v_mul_f64_e32 v[175:176], v[165:166], v[163:164]
	s_delay_alu instid0(VALU_DEP_2) | instskip(NEXT) | instid1(VALU_DEP_2)
	v_fma_f64 v[163:164], v[165:166], v[161:162], -v[173:174]
	v_fma_f64 v[165:166], v[167:168], v[161:162], v[175:176]
	ds_load_b128 v[173:176], v253 offset:5760
	ds_load_b128 v[177:180], v253 offset:6336
	s_wait_loadcnt_dscnt 0x1
	v_mul_f64_e32 v[161:162], v[175:176], v[171:172]
	v_mul_f64_e32 v[171:172], v[173:174], v[171:172]
	s_delay_alu instid0(VALU_DEP_2) | instskip(NEXT) | instid1(VALU_DEP_2)
	v_fma_f64 v[167:168], v[173:174], v[169:170], -v[161:162]
	v_fma_f64 v[169:170], v[175:176], v[169:170], v[171:172]
	s_clause 0x1
	global_load_b128 v[171:174], v253, s[2:3] offset:6336
	global_load_b128 v[181:184], v253, s[2:3] offset:6912
	s_wait_loadcnt_dscnt 0x100
	v_mul_f64_e32 v[161:162], v[179:180], v[173:174]
	v_mul_f64_e32 v[175:176], v[177:178], v[173:174]
	s_delay_alu instid0(VALU_DEP_2) | instskip(NEXT) | instid1(VALU_DEP_2)
	v_fma_f64 v[173:174], v[177:178], v[171:172], -v[161:162]
	v_fma_f64 v[175:176], v[179:180], v[171:172], v[175:176]
	s_wait_loadcnt 0x0
	v_mul_f64_e32 v[161:162], v[151:152], v[183:184]
	v_mul_f64_e32 v[171:172], v[149:150], v[183:184]
	s_delay_alu instid0(VALU_DEP_2) | instskip(NEXT) | instid1(VALU_DEP_2)
	v_fma_f64 v[149:150], v[149:150], v[181:182], -v[161:162]
	v_fma_f64 v[151:152], v[151:152], v[181:182], v[171:172]
	ds_store_b128 v253, v[141:144]
	ds_store_b128 v253, v[145:148] offset:576
	ds_store_b128 v253, v[76:79] offset:1152
	ds_store_b128 v253, v[153:156] offset:1728
	ds_store_b128 v253, v[92:95] offset:2304
	ds_store_b128 v253, v[133:136] offset:2880
	ds_store_b128 v253, v[84:87] offset:3456
	ds_store_b128 v253, v[157:160] offset:4032
	ds_store_b128 v253, v[137:140] offset:4608
	ds_store_b128 v253, v[163:166] offset:5184
	ds_store_b128 v253, v[167:170] offset:5760
	ds_store_b128 v253, v[173:176] offset:6336
	ds_store_b128 v253, v[149:152] offset:6912
.LBB0_13:
	s_wait_alu 0xfffe
	s_or_b32 exec_lo, exec_lo, s1
	global_wb scope:SCOPE_SE
	s_wait_dscnt 0x0
	s_barrier_signal -1
	s_barrier_wait -1
	global_inv scope:SCOPE_SE
	s_and_saveexec_b32 s1, vcc_lo
	s_cbranch_execz .LBB0_15
; %bb.14:
	ds_load_b128 v[72:75], v253
	ds_load_b128 v[116:119], v253 offset:576
	ds_load_b128 v[112:115], v253 offset:1152
	;; [unrolled: 1-line block ×12, first 2 shown]
.LBB0_15:
	s_wait_alu 0xfffe
	s_or_b32 exec_lo, exec_lo, s1
	s_wait_dscnt 0x0
	v_add_f64_e64 v[151:152], v[118:119], -v[2:3]
	s_mov_b32 s10, 0x42a4c3d2
	s_mov_b32 s11, 0xbfea55e2
	v_add_f64_e32 v[149:150], v[0:1], v[116:117]
	v_add_f64_e64 v[135:136], v[114:115], -v[82:83]
	s_mov_b32 s2, 0x1ea71119
	s_mov_b32 s16, 0x2ef20147
	;; [unrolled: 1-line block ×4, first 2 shown]
	v_add_f64_e32 v[133:134], v[80:81], v[112:113]
	v_add_f64_e32 v[189:190], v[2:3], v[118:119]
	s_mov_b32 s14, 0xb2365da1
	s_mov_b32 s15, 0xbfd6b1d8
	v_add_f64_e64 v[191:192], v[116:117], -v[0:1]
	v_add_f64_e32 v[137:138], v[82:83], v[114:115]
	v_add_f64_e64 v[143:144], v[112:113], -v[80:81]
	v_add_f64_e64 v[141:142], v[122:123], -v[90:91]
	s_mov_b32 s20, 0x4bc48dbf
	s_mov_b32 s21, 0xbfcea1e5
	v_add_f64_e32 v[139:140], v[120:121], v[88:89]
	v_add_f64_e32 v[145:146], v[122:123], v[90:91]
	s_mov_b32 s18, 0x93053d00
	s_mov_b32 s19, 0xbfef11f4
	v_add_f64_e64 v[155:156], v[120:121], -v[88:89]
	v_add_f64_e64 v[153:154], v[130:131], -v[98:99]
	s_mov_b32 s28, 0x24c2f84
	s_mov_b32 s29, 0x3fe5384d
	v_add_f64_e32 v[147:148], v[128:129], v[96:97]
	v_add_f64_e32 v[159:160], v[130:131], v[98:99]
	s_mov_b32 s22, 0xd0032e0c
	s_mov_b32 s23, 0xbfe7f3cc
	v_add_f64_e64 v[169:170], v[128:129], -v[96:97]
	v_add_f64_e64 v[167:168], v[126:127], -v[102:103]
	s_mov_b32 s26, 0x66966769
	s_mov_b32 s27, 0xbfefc445
	s_wait_alu 0xfffe
	s_mov_b32 s34, s26
	v_add_f64_e32 v[161:162], v[100:101], v[124:125]
	v_add_f64_e32 v[165:166], v[102:103], v[126:127]
	v_mul_f64_e32 v[76:77], s[10:11], v[151:152]
	s_mov_b32 s24, 0xebaa3ed8
	s_mov_b32 s25, 0x3fbedb7d
	v_add_f64_e64 v[175:176], v[124:125], -v[100:101]
	v_mul_f64_e32 v[163:164], s[16:17], v[135:136]
	v_add_f64_e64 v[177:178], v[110:111], -v[106:107]
	s_mov_b32 s45, 0x3fddbe06
	s_mov_b32 s44, 0x4267c47c
	v_add_f64_e32 v[171:172], v[104:105], v[108:109]
	v_add_f64_e32 v[173:174], v[106:107], v[110:111]
	v_mul_f64_e32 v[193:194], s[2:3], v[189:190]
	s_mov_b32 s30, 0xe00740e9
	s_mov_b32 s31, 0x3fec55a7
	v_add_f64_e64 v[179:180], v[108:109], -v[104:105]
	v_mul_f64_e32 v[181:182], s[14:15], v[137:138]
	v_mul_f64_e32 v[245:246], s[26:27], v[151:152]
	;; [unrolled: 1-line block ×4, first 2 shown]
	s_wait_alu 0xfffe
	v_mul_f64_e32 v[247:248], s[24:25], v[189:190]
	v_mul_f64_e32 v[205:206], s[18:19], v[137:138]
	v_mul_f64_e32 v[185:186], s[18:19], v[145:146]
	s_mov_b32 s41, 0x3fedeba7
	s_mov_b32 s40, s16
	v_mul_f64_e32 v[221:222], s[14:15], v[145:146]
	v_mul_f64_e32 v[187:188], s[28:29], v[153:154]
	s_wait_alu 0xfffe
	v_mul_f64_e32 v[211:212], s[40:41], v[141:142]
	v_mul_f64_e32 v[213:214], s[44:45], v[153:154]
	s_mov_b32 s37, 0xbfe5384d
	v_mul_f64_e32 v[197:198], s[22:23], v[159:160]
	v_mul_f64_e32 v[219:220], s[30:31], v[159:160]
	s_mov_b32 s36, s28
	v_mul_f64_e32 v[249:250], s[16:17], v[151:152]
	v_mul_f64_e32 v[195:196], s[34:35], v[167:168]
	;; [unrolled: 1-line block ×7, first 2 shown]
	scratch_store_b64 off, v[76:77], off    ; 8-byte Folded Spill
	v_fma_f64 v[76:77], v[149:150], s[2:3], -v[76:77]
	v_mul_f64_e32 v[223:224], s[2:3], v[165:166]
	v_mul_f64_e32 v[239:240], s[30:31], v[145:146]
	v_fma_f64 v[78:79], v[133:134], s[14:15], -v[163:164]
	v_mul_f64_e32 v[199:200], s[44:45], v[177:178]
	s_wait_alu 0xfffe
	v_mul_f64_e32 v[217:218], s[36:37], v[177:178]
	v_mul_f64_e32 v[237:238], s[24:25], v[159:160]
	s_mov_b32 s38, s20
	v_mul_f64_e32 v[207:208], s[30:31], v[173:174]
	v_mul_f64_e32 v[225:226], s[22:23], v[173:174]
	;; [unrolled: 1-line block ×3, first 2 shown]
	s_mov_b32 s42, s10
	global_wb scope:SCOPE_SE
	s_wait_storecnt 0x0
	v_fma_f64 v[84:85], v[143:144], s[16:17], v[181:182]
	s_barrier_signal -1
	s_barrier_wait -1
	v_fma_f64 v[86:87], v[133:134], s[18:19], -v[203:204]
	global_inv scope:SCOPE_SE
	v_fma_f64 v[92:93], v[143:144], s[20:21], v[205:206]
	v_fma_f64 v[94:95], v[133:134], s[22:23], -v[209:210]
	v_fma_f64 v[229:230], v[143:144], s[28:29], v[227:228]
	v_add_f64_e32 v[76:77], v[72:73], v[76:77]
	s_delay_alu instid0(VALU_DEP_1) | instskip(SKIP_1) | instid1(VALU_DEP_1)
	v_add_f64_e32 v[76:77], v[78:79], v[76:77]
	v_fma_f64 v[78:79], v[191:192], s[10:11], v[193:194]
	v_add_f64_e32 v[78:79], v[74:75], v[78:79]
	s_delay_alu instid0(VALU_DEP_1) | instskip(SKIP_1) | instid1(VALU_DEP_1)
	v_add_f64_e32 v[78:79], v[84:85], v[78:79]
	v_fma_f64 v[84:85], v[139:140], s[18:19], -v[183:184]
	v_add_f64_e32 v[76:77], v[84:85], v[76:77]
	v_fma_f64 v[84:85], v[155:156], s[20:21], v[185:186]
	s_delay_alu instid0(VALU_DEP_1) | instskip(SKIP_1) | instid1(VALU_DEP_1)
	v_add_f64_e32 v[78:79], v[84:85], v[78:79]
	v_fma_f64 v[84:85], v[147:148], s[22:23], -v[187:188]
	v_add_f64_e32 v[76:77], v[84:85], v[76:77]
	v_fma_f64 v[84:85], v[169:170], s[28:29], v[197:198]
	;; [unrolled: 5-line block ×4, first 2 shown]
	s_delay_alu instid0(VALU_DEP_1) | instskip(SKIP_1) | instid1(VALU_DEP_1)
	v_add_f64_e32 v[78:79], v[84:85], v[78:79]
	v_fma_f64 v[84:85], v[149:150], s[24:25], -v[245:246]
	v_add_f64_e32 v[84:85], v[72:73], v[84:85]
	s_delay_alu instid0(VALU_DEP_1) | instskip(SKIP_1) | instid1(VALU_DEP_1)
	v_add_f64_e32 v[84:85], v[86:87], v[84:85]
	v_fma_f64 v[86:87], v[191:192], s[26:27], v[247:248]
	v_add_f64_e32 v[86:87], v[74:75], v[86:87]
	s_delay_alu instid0(VALU_DEP_1) | instskip(SKIP_1) | instid1(VALU_DEP_1)
	v_add_f64_e32 v[86:87], v[92:93], v[86:87]
	v_fma_f64 v[92:93], v[139:140], s[14:15], -v[211:212]
	v_add_f64_e32 v[84:85], v[92:93], v[84:85]
	v_fma_f64 v[92:93], v[155:156], s[40:41], v[221:222]
	s_delay_alu instid0(VALU_DEP_1) | instskip(SKIP_1) | instid1(VALU_DEP_1)
	v_add_f64_e32 v[86:87], v[92:93], v[86:87]
	v_fma_f64 v[92:93], v[147:148], s[30:31], -v[213:214]
	v_add_f64_e32 v[84:85], v[92:93], v[84:85]
	v_fma_f64 v[92:93], v[169:170], s[44:45], v[219:220]
	;; [unrolled: 5-line block ×4, first 2 shown]
	s_delay_alu instid0(VALU_DEP_1) | instskip(SKIP_1) | instid1(VALU_DEP_1)
	v_add_f64_e32 v[86:87], v[92:93], v[86:87]
	v_fma_f64 v[92:93], v[149:150], s[14:15], -v[249:250]
	v_add_f64_e32 v[92:93], v[72:73], v[92:93]
	s_delay_alu instid0(VALU_DEP_1) | instskip(SKIP_1) | instid1(VALU_DEP_1)
	v_add_f64_e32 v[92:93], v[94:95], v[92:93]
	v_fma_f64 v[94:95], v[191:192], s[16:17], v[251:252]
	v_add_f64_e32 v[94:95], v[74:75], v[94:95]
	s_delay_alu instid0(VALU_DEP_1) | instskip(SKIP_1) | instid1(VALU_DEP_1)
	v_add_f64_e32 v[94:95], v[229:230], v[94:95]
	v_mul_f64_e32 v[229:230], s[44:45], v[141:142]
	v_fma_f64 v[231:232], v[139:140], s[30:31], -v[229:230]
	s_delay_alu instid0(VALU_DEP_1) | instskip(SKIP_1) | instid1(VALU_DEP_1)
	v_add_f64_e32 v[92:93], v[231:232], v[92:93]
	v_fma_f64 v[231:232], v[155:156], s[44:45], v[239:240]
	v_add_f64_e32 v[94:95], v[231:232], v[94:95]
	v_mul_f64_e32 v[231:232], s[26:27], v[153:154]
	s_delay_alu instid0(VALU_DEP_1) | instskip(NEXT) | instid1(VALU_DEP_1)
	v_fma_f64 v[233:234], v[147:148], s[24:25], -v[231:232]
	v_add_f64_e32 v[92:93], v[233:234], v[92:93]
	v_fma_f64 v[233:234], v[169:170], s[26:27], v[237:238]
	s_delay_alu instid0(VALU_DEP_1) | instskip(SKIP_2) | instid1(VALU_DEP_1)
	v_add_f64_e32 v[94:95], v[233:234], v[94:95]
	s_wait_alu 0xfffe
	v_mul_f64_e32 v[233:234], s[38:39], v[167:168]
	v_fma_f64 v[235:236], v[161:162], s[18:19], -v[233:234]
	s_delay_alu instid0(VALU_DEP_1) | instskip(SKIP_1) | instid1(VALU_DEP_1)
	v_add_f64_e32 v[92:93], v[235:236], v[92:93]
	v_fma_f64 v[235:236], v[175:176], s[38:39], v[241:242]
	v_add_f64_e32 v[94:95], v[235:236], v[94:95]
	v_mul_f64_e32 v[235:236], s[42:43], v[177:178]
	s_delay_alu instid0(VALU_DEP_1) | instskip(NEXT) | instid1(VALU_DEP_1)
	v_fma_f64 v[243:244], v[171:172], s[2:3], -v[235:236]
	v_add_f64_e32 v[92:93], v[243:244], v[92:93]
	v_mul_f64_e32 v[243:244], s[2:3], v[173:174]
	s_delay_alu instid0(VALU_DEP_1) | instskip(NEXT) | instid1(VALU_DEP_1)
	v_fma_f64 v[157:158], v[179:180], s[42:43], v[243:244]
	v_add_f64_e32 v[94:95], v[157:158], v[94:95]
	s_and_saveexec_b32 s1, vcc_lo
	s_cbranch_execz .LBB0_17
; %bb.16:
	v_add_f64_e32 v[116:117], v[72:73], v[116:117]
	v_add_f64_e32 v[118:119], v[74:75], v[118:119]
	s_delay_alu instid0(VALU_DEP_2) | instskip(NEXT) | instid1(VALU_DEP_2)
	v_add_f64_e32 v[112:113], v[112:113], v[116:117]
	v_add_f64_e32 v[114:115], v[114:115], v[118:119]
	v_mul_f64_e32 v[116:117], s[36:37], v[191:192]
	s_delay_alu instid0(VALU_DEP_3) | instskip(NEXT) | instid1(VALU_DEP_3)
	v_add_f64_e32 v[112:113], v[120:121], v[112:113]
	v_add_f64_e32 v[114:115], v[122:123], v[114:115]
	s_delay_alu instid0(VALU_DEP_3) | instskip(SKIP_1) | instid1(VALU_DEP_4)
	v_fma_f64 v[122:123], v[189:190], s[22:23], v[116:117]
	v_fma_f64 v[116:117], v[189:190], s[22:23], -v[116:117]
	v_add_f64_e32 v[112:113], v[128:129], v[112:113]
	s_delay_alu instid0(VALU_DEP_4)
	v_add_f64_e32 v[114:115], v[130:131], v[114:115]
	v_mul_f64_e32 v[128:129], s[36:37], v[151:152]
	v_add_f64_e32 v[122:123], v[74:75], v[122:123]
	v_add_f64_e32 v[116:117], v[74:75], v[116:117]
	;; [unrolled: 1-line block ×4, first 2 shown]
	v_mul_f64_e32 v[126:127], s[20:21], v[151:152]
	v_fma_f64 v[157:158], v[149:150], s[22:23], -v[128:129]
	v_fma_f64 v[128:129], v[149:150], s[22:23], v[128:129]
	v_add_f64_e32 v[108:109], v[108:109], v[112:113]
	v_add_f64_e32 v[110:111], v[110:111], v[114:115]
	v_mul_f64_e32 v[112:113], s[44:45], v[167:168]
	v_mul_f64_e32 v[114:115], s[20:21], v[191:192]
	v_add_f64_e32 v[128:129], v[72:73], v[128:129]
	v_add_f64_e32 v[104:105], v[104:105], v[108:109]
	;; [unrolled: 1-line block ×3, first 2 shown]
	v_mul_f64_e32 v[108:109], s[44:45], v[135:136]
	v_mul_f64_e32 v[110:111], s[44:45], v[175:176]
	v_fma_f64 v[120:121], v[189:190], s[18:19], v[114:115]
	v_fma_f64 v[114:115], v[189:190], s[18:19], -v[114:115]
	v_add_f64_e32 v[100:101], v[100:101], v[104:105]
	v_add_f64_e32 v[102:103], v[102:103], v[106:107]
	v_mul_f64_e32 v[104:105], s[44:45], v[179:180]
	v_mul_f64_e32 v[106:107], s[44:45], v[143:144]
	v_add_f64_e32 v[120:121], v[74:75], v[120:121]
	v_add_f64_e32 v[114:115], v[74:75], v[114:115]
	;; [unrolled: 1-line block ×3, first 2 shown]
	scratch_load_b64 v[100:101], off, off th:TH_LOAD_LU ; 8-byte Folded Reload
	v_add_f64_e32 v[98:99], v[98:99], v[102:103]
	v_mul_f64_e32 v[102:103], s[44:45], v[169:170]
	v_add_f64_e64 v[104:105], v[207:208], -v[104:105]
	v_add_f64_e32 v[88:89], v[88:89], v[96:97]
	v_mul_f64_e32 v[96:97], s[10:11], v[191:192]
	v_add_f64_e32 v[90:91], v[90:91], v[98:99]
	v_mul_f64_e32 v[98:99], s[2:3], v[149:150]
	v_add_f64_e64 v[102:103], v[219:220], -v[102:103]
	v_add_f64_e32 v[80:81], v[80:81], v[88:89]
	v_mul_f64_e32 v[88:89], s[26:27], v[191:192]
	;; [unrolled: 5-line block ×3, first 2 shown]
	v_add_f64_e32 v[2:3], v[2:3], v[82:83]
	v_mul_f64_e32 v[82:83], s[14:15], v[149:150]
	v_add_f64_e32 v[90:91], v[90:91], v[245:246]
	v_add_f64_e64 v[88:89], v[247:248], -v[88:89]
	v_add_f64_e64 v[80:81], v[251:252], -v[80:81]
	v_mul_f64_e32 v[251:252], s[34:35], v[177:178]
	v_add_f64_e32 v[82:83], v[82:83], v[249:250]
	v_add_f64_e32 v[245:246], v[72:73], v[90:91]
	;; [unrolled: 1-line block ×4, first 2 shown]
	v_mul_f64_e32 v[249:250], s[34:35], v[179:180]
	s_wait_loadcnt 0x0
	v_add_f64_e32 v[98:99], v[98:99], v[100:101]
	v_mul_f64_e32 v[100:101], s[44:45], v[155:156]
	s_mov_b32 s45, 0xbfddbe06
	s_wait_alu 0xfffe
	v_mul_f64_e32 v[118:119], s[44:45], v[191:192]
	v_mul_f64_e32 v[130:131], s[44:45], v[151:152]
	v_fma_f64 v[151:152], v[149:150], s[18:19], -v[126:127]
	v_fma_f64 v[126:127], v[149:150], s[18:19], v[126:127]
	v_add_f64_e32 v[191:192], v[72:73], v[82:83]
	v_add_f64_e32 v[90:91], v[72:73], v[98:99]
	v_add_f64_e64 v[100:101], v[239:240], -v[100:101]
	v_fma_f64 v[124:125], v[189:190], s[30:31], v[118:119]
	v_fma_f64 v[118:119], v[189:190], s[30:31], -v[118:119]
	v_fma_f64 v[189:190], v[149:150], s[30:31], -v[130:131]
	v_fma_f64 v[130:131], v[149:150], s[30:31], v[130:131]
	v_add_f64_e32 v[149:150], v[72:73], v[151:152]
	v_add_f64_e32 v[126:127], v[72:73], v[126:127]
	;; [unrolled: 1-line block ×4, first 2 shown]
	v_mul_f64_e32 v[80:81], s[36:37], v[155:156]
	v_add_f64_e32 v[124:125], v[74:75], v[124:125]
	v_add_f64_e32 v[118:119], v[74:75], v[118:119]
	;; [unrolled: 1-line block ×4, first 2 shown]
	v_fma_f64 v[72:73], v[137:138], s[30:31], v[106:107]
	v_fma_f64 v[74:75], v[133:134], s[30:31], -v[108:109]
	v_fma_f64 v[106:107], v[137:138], s[30:31], -v[106:107]
	v_fma_f64 v[108:109], v[133:134], s[30:31], v[108:109]
	v_fma_f64 v[82:83], v[145:146], s[22:23], v[80:81]
	v_fma_f64 v[80:81], v[145:146], s[22:23], -v[80:81]
	v_add_f64_e32 v[72:73], v[72:73], v[120:121]
	v_add_f64_e32 v[74:75], v[74:75], v[149:150]
	v_add_f64_e32 v[106:107], v[106:107], v[114:115]
	v_add_f64_e32 v[108:109], v[108:109], v[126:127]
	v_mul_f64_e32 v[114:115], s[28:29], v[169:170]
	v_mul_f64_e32 v[126:127], s[18:19], v[161:162]
	v_add_f64_e32 v[72:73], v[82:83], v[72:73]
	v_mul_f64_e32 v[82:83], s[36:37], v[141:142]
	v_add_f64_e32 v[80:81], v[80:81], v[106:107]
	v_mul_f64_e32 v[106:107], s[20:21], v[155:156]
	v_add_f64_e64 v[114:115], v[197:198], -v[114:115]
	v_add_f64_e32 v[126:127], v[126:127], v[233:234]
	v_fma_f64 v[96:97], v[139:140], s[22:23], -v[82:83]
	v_fma_f64 v[82:83], v[139:140], s[22:23], v[82:83]
	v_add_f64_e64 v[106:107], v[185:186], -v[106:107]
	s_delay_alu instid0(VALU_DEP_3) | instskip(SKIP_1) | instid1(VALU_DEP_4)
	v_add_f64_e32 v[74:75], v[96:97], v[74:75]
	v_mul_f64_e32 v[96:97], s[42:43], v[169:170]
	v_add_f64_e32 v[82:83], v[82:83], v[108:109]
	v_mul_f64_e32 v[108:109], s[18:19], v[139:140]
	s_delay_alu instid0(VALU_DEP_3) | instskip(SKIP_1) | instid1(VALU_DEP_3)
	v_fma_f64 v[98:99], v[159:160], s[2:3], v[96:97]
	v_fma_f64 v[96:97], v[159:160], s[2:3], -v[96:97]
	v_add_f64_e32 v[108:109], v[108:109], v[183:184]
	s_delay_alu instid0(VALU_DEP_3) | instskip(SKIP_1) | instid1(VALU_DEP_4)
	v_add_f64_e32 v[72:73], v[98:99], v[72:73]
	v_mul_f64_e32 v[98:99], s[42:43], v[153:154]
	v_add_f64_e32 v[80:81], v[96:97], v[80:81]
	s_delay_alu instid0(VALU_DEP_2) | instskip(SKIP_2) | instid1(VALU_DEP_3)
	v_fma_f64 v[120:121], v[147:148], s[2:3], -v[98:99]
	v_fma_f64 v[96:97], v[147:148], s[2:3], v[98:99]
	v_fma_f64 v[98:99], v[171:172], s[24:25], v[251:252]
	v_add_f64_e32 v[74:75], v[120:121], v[74:75]
	v_mul_f64_e32 v[120:121], s[16:17], v[175:176]
	s_delay_alu instid0(VALU_DEP_4) | instskip(NEXT) | instid1(VALU_DEP_2)
	v_add_f64_e32 v[82:83], v[96:97], v[82:83]
	v_fma_f64 v[149:150], v[165:166], s[14:15], v[120:121]
	v_fma_f64 v[96:97], v[165:166], s[14:15], -v[120:121]
	v_mul_f64_e32 v[120:121], s[22:23], v[147:148]
	s_delay_alu instid0(VALU_DEP_3) | instskip(SKIP_1) | instid1(VALU_DEP_4)
	v_add_f64_e32 v[72:73], v[149:150], v[72:73]
	v_mul_f64_e32 v[149:150], s[16:17], v[167:168]
	v_add_f64_e32 v[80:81], v[96:97], v[80:81]
	s_delay_alu instid0(VALU_DEP_4) | instskip(NEXT) | instid1(VALU_DEP_3)
	v_add_f64_e32 v[120:121], v[120:121], v[187:188]
	v_fma_f64 v[96:97], v[161:162], s[14:15], v[149:150]
	v_fma_f64 v[247:248], v[161:162], s[14:15], -v[149:150]
	s_delay_alu instid0(VALU_DEP_2) | instskip(SKIP_1) | instid1(VALU_DEP_3)
	v_add_f64_e32 v[96:97], v[96:97], v[82:83]
	v_fma_f64 v[82:83], v[173:174], s[24:25], -v[249:250]
	v_add_f64_e32 v[247:248], v[247:248], v[74:75]
	v_fma_f64 v[74:75], v[173:174], s[24:25], v[249:250]
	s_delay_alu instid0(VALU_DEP_3)
	v_add_f64_e32 v[82:83], v[82:83], v[80:81]
	v_add_f64_e32 v[80:81], v[98:99], v[96:97]
	v_mul_f64_e32 v[96:97], s[16:17], v[143:144]
	v_mul_f64_e32 v[98:99], s[14:15], v[133:134]
	v_add_f64_e32 v[74:75], v[74:75], v[72:73]
	v_fma_f64 v[72:73], v[171:172], s[24:25], -v[251:252]
	s_delay_alu instid0(VALU_DEP_4) | instskip(NEXT) | instid1(VALU_DEP_4)
	v_add_f64_e64 v[96:97], v[181:182], -v[96:97]
	v_add_f64_e32 v[98:99], v[98:99], v[163:164]
	v_mul_f64_e32 v[163:164], s[16:17], v[177:178]
	s_delay_alu instid0(VALU_DEP_4) | instskip(NEXT) | instid1(VALU_DEP_4)
	v_add_f64_e32 v[72:73], v[72:73], v[247:248]
	v_add_f64_e32 v[88:89], v[96:97], v[88:89]
	s_delay_alu instid0(VALU_DEP_4) | instskip(SKIP_2) | instid1(VALU_DEP_4)
	v_add_f64_e32 v[90:91], v[98:99], v[90:91]
	v_mul_f64_e32 v[96:97], s[34:35], v[175:176]
	v_mul_f64_e32 v[98:99], s[24:25], v[161:162]
	v_add_f64_e32 v[88:89], v[106:107], v[88:89]
	s_delay_alu instid0(VALU_DEP_4) | instskip(NEXT) | instid1(VALU_DEP_4)
	v_add_f64_e32 v[90:91], v[108:109], v[90:91]
	v_add_f64_e64 v[96:97], v[201:202], -v[96:97]
	s_delay_alu instid0(VALU_DEP_4)
	v_add_f64_e32 v[98:99], v[98:99], v[195:196]
	v_mul_f64_e32 v[106:107], s[30:31], v[171:172]
	v_mul_f64_e32 v[108:109], s[30:31], v[147:148]
	v_add_f64_e32 v[88:89], v[114:115], v[88:89]
	v_add_f64_e32 v[90:91], v[120:121], v[90:91]
	v_mul_f64_e32 v[114:115], s[10:11], v[175:176]
	v_mul_f64_e32 v[120:121], s[2:3], v[161:162]
	v_add_f64_e32 v[106:107], v[106:107], v[199:200]
	v_add_f64_e32 v[108:109], v[108:109], v[213:214]
	;; [unrolled: 1-line block ×4, first 2 shown]
	v_mul_f64_e32 v[98:99], s[20:21], v[143:144]
	v_add_f64_e64 v[114:115], v[223:224], -v[114:115]
	v_add_f64_e32 v[120:121], v[120:121], v[215:216]
	v_add_f64_e32 v[90:91], v[104:105], v[88:89]
	;; [unrolled: 1-line block ×3, first 2 shown]
	v_mul_f64_e32 v[106:107], s[18:19], v[133:134]
	v_mul_f64_e32 v[96:97], s[40:41], v[155:156]
	v_add_f64_e64 v[98:99], v[205:206], -v[98:99]
	v_mul_f64_e32 v[104:105], s[14:15], v[139:140]
	s_delay_alu instid0(VALU_DEP_4) | instskip(NEXT) | instid1(VALU_DEP_4)
	v_add_f64_e32 v[106:107], v[106:107], v[203:204]
	v_add_f64_e64 v[96:97], v[221:222], -v[96:97]
	s_delay_alu instid0(VALU_DEP_4) | instskip(NEXT) | instid1(VALU_DEP_4)
	v_add_f64_e32 v[98:99], v[98:99], v[193:194]
	v_add_f64_e32 v[104:105], v[104:105], v[211:212]
	s_delay_alu instid0(VALU_DEP_4) | instskip(NEXT) | instid1(VALU_DEP_3)
	v_add_f64_e32 v[106:107], v[106:107], v[245:246]
	v_add_f64_e32 v[96:97], v[96:97], v[98:99]
	s_delay_alu instid0(VALU_DEP_2) | instskip(SKIP_1) | instid1(VALU_DEP_3)
	v_add_f64_e32 v[98:99], v[104:105], v[106:107]
	v_mul_f64_e32 v[104:105], s[36:37], v[179:180]
	v_add_f64_e32 v[96:97], v[102:103], v[96:97]
	v_mul_f64_e32 v[102:103], s[22:23], v[171:172]
	s_delay_alu instid0(VALU_DEP_4) | instskip(NEXT) | instid1(VALU_DEP_4)
	v_add_f64_e32 v[98:99], v[108:109], v[98:99]
	v_add_f64_e64 v[104:105], v[225:226], -v[104:105]
	s_delay_alu instid0(VALU_DEP_4) | instskip(NEXT) | instid1(VALU_DEP_4)
	v_add_f64_e32 v[96:97], v[114:115], v[96:97]
	v_add_f64_e32 v[102:103], v[102:103], v[217:218]
	v_mul_f64_e32 v[108:109], s[26:27], v[169:170]
	v_mul_f64_e32 v[114:115], s[24:25], v[147:148]
	v_add_f64_e32 v[106:107], v[120:121], v[98:99]
	v_mul_f64_e32 v[120:121], s[38:39], v[175:176]
	v_add_f64_e32 v[98:99], v[104:105], v[96:97]
	v_mul_f64_e32 v[104:105], s[30:31], v[139:140]
	v_add_f64_e64 v[108:109], v[237:238], -v[108:109]
	v_add_f64_e32 v[114:115], v[114:115], v[231:232]
	v_add_f64_e32 v[96:97], v[102:103], v[106:107]
	v_mul_f64_e32 v[102:103], s[28:29], v[143:144]
	v_mul_f64_e32 v[106:107], s[22:23], v[133:134]
	v_add_f64_e32 v[104:105], v[104:105], v[229:230]
	v_add_f64_e64 v[120:121], v[241:242], -v[120:121]
	s_delay_alu instid0(VALU_DEP_4) | instskip(NEXT) | instid1(VALU_DEP_4)
	v_add_f64_e64 v[102:103], v[227:228], -v[102:103]
	v_add_f64_e32 v[106:107], v[106:107], v[209:210]
	s_delay_alu instid0(VALU_DEP_2) | instskip(NEXT) | instid1(VALU_DEP_2)
	v_add_f64_e32 v[102:103], v[102:103], v[157:158]
	v_add_f64_e32 v[106:107], v[106:107], v[191:192]
	v_mul_f64_e32 v[157:158], s[16:17], v[179:180]
	s_delay_alu instid0(VALU_DEP_3) | instskip(NEXT) | instid1(VALU_DEP_3)
	v_add_f64_e32 v[100:101], v[100:101], v[102:103]
	v_add_f64_e32 v[102:103], v[104:105], v[106:107]
	v_mul_f64_e32 v[104:105], s[42:43], v[179:180]
	v_mul_f64_e32 v[106:107], s[2:3], v[171:172]
	s_delay_alu instid0(VALU_DEP_4) | instskip(NEXT) | instid1(VALU_DEP_4)
	v_add_f64_e32 v[100:101], v[108:109], v[100:101]
	v_add_f64_e32 v[102:103], v[114:115], v[102:103]
	s_delay_alu instid0(VALU_DEP_4) | instskip(NEXT) | instid1(VALU_DEP_4)
	v_add_f64_e64 v[104:105], v[243:244], -v[104:105]
	v_add_f64_e32 v[106:107], v[106:107], v[235:236]
	v_mul_f64_e32 v[114:115], s[34:35], v[135:136]
	v_add_f64_e32 v[100:101], v[120:121], v[100:101]
	v_add_f64_e32 v[108:109], v[126:127], v[102:103]
	s_delay_alu instid0(VALU_DEP_2) | instskip(NEXT) | instid1(VALU_DEP_2)
	v_add_f64_e32 v[102:103], v[104:105], v[100:101]
	v_add_f64_e32 v[100:101], v[106:107], v[108:109]
	v_mul_f64_e32 v[108:109], s[34:35], v[143:144]
	v_fma_f64 v[106:107], v[133:134], s[24:25], v[114:115]
	v_fma_f64 v[114:115], v[133:134], s[24:25], -v[114:115]
	s_delay_alu instid0(VALU_DEP_3) | instskip(NEXT) | instid1(VALU_DEP_3)
	v_fma_f64 v[104:105], v[137:138], s[24:25], -v[108:109]
	v_add_f64_e32 v[106:107], v[106:107], v[128:129]
	v_fma_f64 v[108:109], v[137:138], s[24:25], v[108:109]
	s_delay_alu instid0(VALU_DEP_4) | instskip(NEXT) | instid1(VALU_DEP_4)
	v_add_f64_e32 v[114:115], v[114:115], v[151:152]
	v_add_f64_e32 v[104:105], v[104:105], v[116:117]
	v_mul_f64_e32 v[116:117], s[10:11], v[155:156]
	s_delay_alu instid0(VALU_DEP_4) | instskip(NEXT) | instid1(VALU_DEP_2)
	v_add_f64_e32 v[108:109], v[108:109], v[122:123]
	v_fma_f64 v[120:121], v[145:146], s[2:3], -v[116:117]
	v_fma_f64 v[116:117], v[145:146], s[2:3], v[116:117]
	s_delay_alu instid0(VALU_DEP_2) | instskip(SKIP_1) | instid1(VALU_DEP_3)
	v_add_f64_e32 v[104:105], v[120:121], v[104:105]
	v_mul_f64_e32 v[120:121], s[10:11], v[141:142]
	v_add_f64_e32 v[108:109], v[116:117], v[108:109]
	s_delay_alu instid0(VALU_DEP_2) | instskip(SKIP_2) | instid1(VALU_DEP_3)
	v_fma_f64 v[126:127], v[139:140], s[2:3], v[120:121]
	v_fma_f64 v[116:117], v[139:140], s[2:3], -v[120:121]
	v_mul_f64_e32 v[120:121], s[26:27], v[155:156]
	v_add_f64_e32 v[106:107], v[126:127], v[106:107]
	v_mul_f64_e32 v[126:127], s[38:39], v[169:170]
	s_delay_alu instid0(VALU_DEP_4) | instskip(NEXT) | instid1(VALU_DEP_4)
	v_add_f64_e32 v[114:115], v[116:117], v[114:115]
	v_fma_f64 v[122:123], v[145:146], s[24:25], -v[120:121]
	v_fma_f64 v[120:121], v[145:146], s[24:25], v[120:121]
	s_delay_alu instid0(VALU_DEP_4) | instskip(SKIP_1) | instid1(VALU_DEP_2)
	v_fma_f64 v[128:129], v[159:160], s[18:19], -v[126:127]
	v_fma_f64 v[116:117], v[159:160], s[18:19], v[126:127]
	v_add_f64_e32 v[104:105], v[128:129], v[104:105]
	v_mul_f64_e32 v[128:129], s[38:39], v[153:154]
	s_delay_alu instid0(VALU_DEP_3) | instskip(NEXT) | instid1(VALU_DEP_2)
	v_add_f64_e32 v[108:109], v[116:117], v[108:109]
	v_fma_f64 v[149:150], v[147:148], s[18:19], v[128:129]
	v_fma_f64 v[116:117], v[147:148], s[18:19], -v[128:129]
	s_delay_alu instid0(VALU_DEP_2) | instskip(SKIP_2) | instid1(VALU_DEP_4)
	v_add_f64_e32 v[106:107], v[149:150], v[106:107]
	v_fma_f64 v[149:150], v[165:166], s[30:31], -v[110:111]
	v_fma_f64 v[110:111], v[165:166], s[30:31], v[110:111]
	v_add_f64_e32 v[114:115], v[116:117], v[114:115]
	v_mul_f64_e32 v[116:117], s[10:11], v[143:144]
	v_mul_f64_e32 v[143:144], s[20:21], v[179:180]
	v_add_f64_e32 v[104:105], v[149:150], v[104:105]
	v_add_f64_e32 v[108:109], v[110:111], v[108:109]
	v_fma_f64 v[110:111], v[161:162], s[30:31], -v[112:113]
	v_fma_f64 v[149:150], v[161:162], s[30:31], v[112:113]
	s_delay_alu instid0(VALU_DEP_2) | instskip(SKIP_2) | instid1(VALU_DEP_4)
	v_add_f64_e32 v[112:113], v[110:111], v[114:115]
	v_fma_f64 v[110:111], v[173:174], s[14:15], v[157:158]
	v_fma_f64 v[114:115], v[171:172], s[14:15], -v[163:164]
	v_add_f64_e32 v[149:150], v[149:150], v[106:107]
	v_fma_f64 v[106:107], v[173:174], s[14:15], -v[157:158]
	s_delay_alu instid0(VALU_DEP_4) | instskip(NEXT) | instid1(VALU_DEP_4)
	v_add_f64_e32 v[110:111], v[110:111], v[108:109]
	v_add_f64_e32 v[108:109], v[114:115], v[112:113]
	v_fma_f64 v[112:113], v[137:138], s[2:3], -v[116:117]
	v_fma_f64 v[116:117], v[137:138], s[2:3], v[116:117]
	v_add_f64_e32 v[106:107], v[106:107], v[104:105]
	v_fma_f64 v[104:105], v[171:172], s[14:15], v[163:164]
	s_delay_alu instid0(VALU_DEP_4) | instskip(SKIP_2) | instid1(VALU_DEP_4)
	v_add_f64_e32 v[112:113], v[112:113], v[118:119]
	v_mul_f64_e32 v[118:119], s[10:11], v[135:136]
	v_add_f64_e32 v[116:117], v[116:117], v[124:125]
	v_add_f64_e32 v[104:105], v[104:105], v[149:150]
	v_mul_f64_e32 v[149:150], s[20:21], v[177:178]
	v_add_f64_e32 v[112:113], v[122:123], v[112:113]
	v_fma_f64 v[114:115], v[133:134], s[2:3], v[118:119]
	v_mul_f64_e32 v[122:123], s[26:27], v[141:142]
	v_fma_f64 v[118:119], v[133:134], s[2:3], -v[118:119]
	v_add_f64_e32 v[116:117], v[120:121], v[116:117]
	s_delay_alu instid0(VALU_DEP_4) | instskip(NEXT) | instid1(VALU_DEP_4)
	v_add_f64_e32 v[114:115], v[114:115], v[130:131]
	v_fma_f64 v[126:127], v[139:140], s[24:25], v[122:123]
	v_fma_f64 v[122:123], v[139:140], s[24:25], -v[122:123]
	v_add_f64_e32 v[118:119], v[118:119], v[189:190]
	s_delay_alu instid0(VALU_DEP_3) | instskip(SKIP_1) | instid1(VALU_DEP_3)
	v_add_f64_e32 v[114:115], v[126:127], v[114:115]
	v_mul_f64_e32 v[126:127], s[16:17], v[169:170]
	v_add_f64_e32 v[118:119], v[122:123], v[118:119]
	s_delay_alu instid0(VALU_DEP_2) | instskip(SKIP_1) | instid1(VALU_DEP_2)
	v_fma_f64 v[128:129], v[159:160], s[14:15], -v[126:127]
	v_fma_f64 v[124:125], v[159:160], s[14:15], v[126:127]
	v_add_f64_e32 v[112:113], v[128:129], v[112:113]
	v_mul_f64_e32 v[128:129], s[16:17], v[153:154]
	s_delay_alu instid0(VALU_DEP_3) | instskip(SKIP_1) | instid1(VALU_DEP_3)
	v_add_f64_e32 v[116:117], v[124:125], v[116:117]
	v_fma_f64 v[124:125], v[173:174], s[18:19], v[143:144]
	v_fma_f64 v[130:131], v[147:148], s[14:15], v[128:129]
	v_fma_f64 v[126:127], v[147:148], s[14:15], -v[128:129]
	s_delay_alu instid0(VALU_DEP_2) | instskip(SKIP_1) | instid1(VALU_DEP_3)
	v_add_f64_e32 v[114:115], v[130:131], v[114:115]
	v_mul_f64_e32 v[130:131], s[36:37], v[175:176]
	v_add_f64_e32 v[118:119], v[126:127], v[118:119]
	v_fma_f64 v[126:127], v[171:172], s[18:19], -v[149:150]
	s_delay_alu instid0(VALU_DEP_3) | instskip(SKIP_1) | instid1(VALU_DEP_2)
	v_fma_f64 v[135:136], v[165:166], s[22:23], -v[130:131]
	v_fma_f64 v[120:121], v[165:166], s[22:23], v[130:131]
	v_add_f64_e32 v[112:113], v[135:136], v[112:113]
	v_mul_f64_e32 v[135:136], s[36:37], v[167:168]
	s_delay_alu instid0(VALU_DEP_3) | instskip(NEXT) | instid1(VALU_DEP_2)
	v_add_f64_e32 v[116:117], v[120:121], v[116:117]
	v_fma_f64 v[141:142], v[161:162], s[22:23], v[135:136]
	v_fma_f64 v[122:123], v[161:162], s[22:23], -v[135:136]
	s_delay_alu instid0(VALU_DEP_2) | instskip(SKIP_1) | instid1(VALU_DEP_3)
	v_add_f64_e32 v[141:142], v[141:142], v[114:115]
	v_fma_f64 v[114:115], v[173:174], s[18:19], -v[143:144]
	v_add_f64_e32 v[120:121], v[122:123], v[118:119]
	v_add_f64_e32 v[118:119], v[124:125], v[116:117]
	s_delay_alu instid0(VALU_DEP_3) | instskip(SKIP_1) | instid1(VALU_DEP_4)
	v_add_f64_e32 v[114:115], v[114:115], v[112:113]
	v_fma_f64 v[112:113], v[171:172], s[18:19], v[149:150]
	v_add_f64_e32 v[116:117], v[126:127], v[120:121]
	v_mul_lo_u16 v120, v254, 13
	s_delay_alu instid0(VALU_DEP_1) | instskip(NEXT) | instid1(VALU_DEP_1)
	v_and_b32_e32 v120, 0xffff, v120
	v_lshlrev_b32_e32 v120, 4, v120
	v_add_f64_e32 v[112:113], v[112:113], v[141:142]
	ds_store_b128 v120, v[88:91] offset:32
	ds_store_b128 v120, v[96:99] offset:48
	;; [unrolled: 1-line block ×11, first 2 shown]
	ds_store_b128 v120, v[0:3]
	ds_store_b128 v120, v[116:119] offset:192
.LBB0_17:
	s_wait_alu 0xfffe
	s_or_b32 exec_lo, exec_lo, s1
	global_wb scope:SCOPE_SE
	s_wait_dscnt 0x0
	s_barrier_signal -1
	s_barrier_wait -1
	global_inv scope:SCOPE_SE
	ds_load_b128 v[0:3], v253 offset:832
	ds_load_b128 v[72:75], v253 offset:6656
	ds_load_b128 v[80:83], v253 offset:1664
	ds_load_b128 v[88:91], v253 offset:3328
	ds_load_b128 v[96:99], v253 offset:4160
	ds_load_b128 v[100:103], v253 offset:5824
	ds_load_b128 v[104:107], v253 offset:2496
	s_mov_b32 s2, 0x8c811c17
	s_mov_b32 s14, 0xa2cf5039
	;; [unrolled: 1-line block ×8, first 2 shown]
	s_wait_dscnt 0x6
	v_mul_f64_e32 v[108:109], v[14:15], v[2:3]
	v_mul_f64_e32 v[14:15], v[14:15], v[0:1]
	s_wait_dscnt 0x5
	v_mul_f64_e32 v[110:111], v[38:39], v[74:75]
	v_mul_f64_e32 v[38:39], v[38:39], v[72:73]
	;; [unrolled: 3-line block ×3, first 2 shown]
	s_wait_dscnt 0x3
	v_mul_f64_e32 v[114:115], v[18:19], v[90:91]
	s_wait_dscnt 0x2
	v_mul_f64_e32 v[116:117], v[46:47], v[98:99]
	v_mul_f64_e32 v[18:19], v[18:19], v[88:89]
	;; [unrolled: 1-line block ×3, first 2 shown]
	s_wait_dscnt 0x1
	v_mul_f64_e32 v[118:119], v[42:43], v[102:103]
	v_mul_f64_e32 v[42:43], v[42:43], v[100:101]
	v_fma_f64 v[108:109], v[12:13], v[0:1], v[108:109]
	v_fma_f64 v[12:13], v[12:13], v[2:3], -v[14:15]
	v_fma_f64 v[14:15], v[36:37], v[72:73], v[110:111]
	v_fma_f64 v[36:37], v[36:37], v[74:75], -v[38:39]
	;; [unrolled: 2-line block ×3, first 2 shown]
	v_fma_f64 v[34:35], v[16:17], v[88:89], v[114:115]
	v_fma_f64 v[72:73], v[44:45], v[96:97], v[116:117]
	v_fma_f64 v[16:17], v[16:17], v[90:91], -v[18:19]
	v_fma_f64 v[18:19], v[44:45], v[98:99], -v[46:47]
	v_fma_f64 v[44:45], v[40:41], v[100:101], v[118:119]
	v_fma_f64 v[40:41], v[40:41], v[102:103], -v[42:43]
	ds_load_b128 v[0:3], v253 offset:4992
	s_wait_dscnt 0x1
	v_mul_f64_e32 v[42:43], v[10:11], v[106:107]
	v_mul_f64_e32 v[46:47], v[10:11], v[104:105]
	v_add_f64_e64 v[80:81], v[108:109], -v[14:15]
	v_add_f64_e64 v[82:83], v[12:13], -v[36:37]
	v_add_f64_e32 v[36:37], v[12:13], v[36:37]
	ds_load_b128 v[10:13], v253
	s_wait_dscnt 0x1
	v_mul_f64_e32 v[74:75], v[6:7], v[2:3]
	v_mul_f64_e32 v[6:7], v[6:7], v[0:1]
	v_add_f64_e32 v[14:15], v[108:109], v[14:15]
	v_add_f64_e32 v[88:89], v[34:35], v[72:73]
	v_add_f64_e64 v[90:91], v[34:35], -v[72:73]
	v_add_f64_e64 v[96:97], v[16:17], -v[18:19]
	v_add_f64_e32 v[98:99], v[38:39], v[44:45]
	v_add_f64_e32 v[100:101], v[32:33], v[40:41]
	;; [unrolled: 1-line block ×3, first 2 shown]
	v_fma_f64 v[42:43], v[8:9], v[104:105], v[42:43]
	v_fma_f64 v[8:9], v[8:9], v[106:107], -v[46:47]
	global_wb scope:SCOPE_SE
	s_wait_dscnt 0x0
	s_barrier_signal -1
	s_barrier_wait -1
	global_inv scope:SCOPE_SE
	v_fma_f64 v[0:1], v[4:5], v[0:1], v[74:75]
	v_fma_f64 v[2:3], v[4:5], v[2:3], -v[6:7]
	v_add_f64_e64 v[4:5], v[38:39], -v[44:45]
	v_add_f64_e64 v[6:7], v[32:33], -v[40:41]
	s_wait_alu 0xfffe
	v_mul_f64_e32 v[32:33], s[10:11], v[80:81]
	v_mul_f64_e32 v[38:39], s[10:11], v[82:83]
	v_fma_f64 v[40:41], v[14:15], s[14:15], v[10:11]
	v_fma_f64 v[44:45], v[36:37], s[14:15], v[12:13]
	;; [unrolled: 1-line block ×3, first 2 shown]
	v_mul_f64_e32 v[74:75], s[2:3], v[90:91]
	v_mul_f64_e32 v[104:105], s[2:3], v[96:97]
	v_fma_f64 v[106:107], v[98:99], s[14:15], v[10:11]
	v_fma_f64 v[108:109], v[100:101], s[14:15], v[12:13]
	s_mov_b32 s11, 0xbfe491b7
	v_fma_f64 v[110:111], v[102:103], s[14:15], v[12:13]
	s_wait_alu 0xfffe
	v_mul_f64_e32 v[112:113], s[10:11], v[96:97]
	v_mul_f64_e32 v[114:115], s[10:11], v[90:91]
	v_add_f64_e32 v[120:121], v[98:99], v[14:15]
	v_add_f64_e32 v[122:123], v[100:101], v[36:37]
	s_mov_b32 s14, 0x7e0b738b
	s_mov_b32 s15, 0x3fc63a1a
	v_add_f64_e32 v[116:117], v[42:43], v[0:1]
	v_add_f64_e32 v[118:119], v[8:9], v[2:3]
	v_add_f64_e64 v[0:1], v[42:43], -v[0:1]
	v_add_f64_e64 v[2:3], v[8:9], -v[2:3]
	v_fma_f64 v[8:9], v[4:5], s[2:3], v[32:33]
	v_fma_f64 v[32:33], v[6:7], s[2:3], v[38:39]
	s_wait_alu 0xfffe
	v_fma_f64 v[38:39], v[98:99], s[14:15], v[40:41]
	v_fma_f64 v[40:41], v[100:101], s[14:15], v[44:45]
	;; [unrolled: 1-line block ×3, first 2 shown]
	v_fma_f64 v[44:45], v[4:5], s[10:11], -v[74:75]
	v_fma_f64 v[46:47], v[6:7], s[10:11], -v[104:105]
	v_fma_f64 v[74:75], v[88:89], s[14:15], v[106:107]
	v_fma_f64 v[104:105], v[102:103], s[14:15], v[108:109]
	s_mov_b32 s11, 0xbfebb67a
	v_fma_f64 v[106:107], v[36:37], s[14:15], v[110:111]
	v_fma_f64 v[108:109], v[82:83], s[2:3], v[112:113]
	;; [unrolled: 1-line block ×3, first 2 shown]
	v_add_f64_e32 v[128:129], v[88:89], v[120:121]
	v_add_f64_e32 v[130:131], v[102:103], v[122:123]
	s_mov_b32 s2, 0xe8584cab
	s_mov_b32 s3, 0x3febb67a
	s_wait_alu 0xfffe
	s_mov_b32 s10, s2
	v_add_f64_e32 v[112:113], v[90:91], v[80:81]
	v_add_f64_e32 v[114:115], v[96:97], v[82:83]
	s_mov_b32 s14, 0x748a0bf8
	s_mov_b32 s15, 0x3fd5e3a8
	v_add_f64_e32 v[120:121], v[116:117], v[120:121]
	v_add_f64_e32 v[122:123], v[118:119], v[122:123]
	;; [unrolled: 1-line block ×4, first 2 shown]
	v_fma_f64 v[8:9], v[0:1], s[2:3], v[8:9]
	v_fma_f64 v[32:33], v[2:3], s[2:3], v[32:33]
	v_fma_f64 v[38:39], v[116:117], -0.5, v[38:39]
	v_fma_f64 v[40:41], v[118:119], -0.5, v[40:41]
	;; [unrolled: 1-line block ×3, first 2 shown]
	v_fma_f64 v[44:45], v[0:1], s[2:3], v[44:45]
	v_fma_f64 v[46:47], v[2:3], s[2:3], v[46:47]
	v_fma_f64 v[74:75], v[116:117], -0.5, v[74:75]
	v_fma_f64 v[104:105], v[118:119], -0.5, v[104:105]
	;; [unrolled: 1-line block ×3, first 2 shown]
	s_wait_alu 0xfffe
	v_fma_f64 v[2:3], v[2:3], s[10:11], v[108:109]
	v_fma_f64 v[0:1], v[0:1], s[10:11], v[110:111]
	v_add_f64_e64 v[108:109], v[112:113], -v[4:5]
	v_add_f64_e64 v[110:111], v[114:115], -v[6:7]
	v_add_f64_e32 v[34:35], v[34:35], v[120:121]
	v_add_f64_e32 v[16:17], v[16:17], v[122:123]
	v_fma_f64 v[112:113], v[128:129], -0.5, v[124:125]
	v_fma_f64 v[114:115], v[130:131], -0.5, v[126:127]
	v_fma_f64 v[90:91], v[90:91], s[14:15], v[8:9]
	v_fma_f64 v[96:97], v[96:97], s[14:15], v[32:33]
	;; [unrolled: 1-line block ×12, first 2 shown]
	v_mul_f64_e32 v[0:1], s[2:3], v[108:109]
	v_mul_f64_e32 v[2:3], s[2:3], v[110:111]
	v_add_f64_e32 v[46:47], v[72:73], v[34:35]
	v_add_f64_e32 v[18:19], v[18:19], v[16:17]
	v_fma_f64 v[4:5], v[110:111], s[10:11], v[112:113]
	v_fma_f64 v[6:7], v[108:109], s[2:3], v[114:115]
	v_add_f64_e64 v[14:15], v[8:9], -v[96:97]
	v_add_f64_e32 v[16:17], v[90:91], v[38:39]
	v_add_f64_e64 v[32:33], v[32:33], -v[44:45]
	v_add_f64_e32 v[34:35], v[80:81], v[36:37]
	;; [unrolled: 2-line block ×3, first 2 shown]
	v_add_f64_e32 v[8:9], v[10:11], v[46:47]
	v_add_f64_e32 v[10:11], v[12:13], v[18:19]
	v_fma_f64 v[40:41], v[2:3], 2.0, v[4:5]
	v_fma_f64 v[42:43], v[0:1], -2.0, v[6:7]
	v_fma_f64 v[0:1], v[96:97], 2.0, v[14:15]
	v_fma_f64 v[2:3], v[90:91], -2.0, v[16:17]
	;; [unrolled: 2-line block ×4, first 2 shown]
	ds_store_b128 v255, v[8:11]
	ds_store_b128 v255, v[14:17] offset:208
	ds_store_b128 v255, v[36:39] offset:416
	;; [unrolled: 1-line block ×8, first 2 shown]
	global_wb scope:SCOPE_SE
	s_wait_dscnt 0x0
	s_barrier_signal -1
	s_barrier_wait -1
	global_inv scope:SCOPE_SE
	ds_load_b128 v[4:7], v253
	ds_load_b128 v[8:11], v253 offset:832
	ds_load_b128 v[36:39], v253 offset:1872
	;; [unrolled: 1-line block ×7, first 2 shown]
	s_and_saveexec_b32 s1, s0
	s_cbranch_execz .LBB0_19
; %bb.18:
	ds_load_b128 v[0:3], v253 offset:1664
	ds_load_b128 v[92:95], v253 offset:3536
	ds_load_b128 v[84:87], v253 offset:5408
	ds_load_b128 v[76:79], v253 offset:7280
.LBB0_19:
	s_wait_alu 0xfffe
	s_or_b32 exec_lo, exec_lo, s1
	s_wait_dscnt 0x5
	v_mul_f64_e32 v[72:73], v[66:67], v[38:39]
	v_mul_f64_e32 v[66:67], v[66:67], v[36:37]
	s_wait_dscnt 0x3
	v_mul_f64_e32 v[74:75], v[50:51], v[42:43]
	v_mul_f64_e32 v[50:51], v[50:51], v[40:41]
	;; [unrolled: 3-line block ×3, first 2 shown]
	v_mul_f64_e32 v[82:83], v[58:59], v[14:15]
	v_mul_f64_e32 v[58:59], v[58:59], v[12:13]
	;; [unrolled: 1-line block ×4, first 2 shown]
	s_wait_dscnt 0x0
	v_mul_f64_e32 v[90:91], v[54:55], v[34:35]
	v_mul_f64_e32 v[54:55], v[54:55], v[32:33]
	v_fma_f64 v[36:37], v[64:65], v[36:37], v[72:73]
	v_fma_f64 v[38:39], v[64:65], v[38:39], -v[66:67]
	v_fma_f64 v[40:41], v[48:49], v[40:41], v[74:75]
	v_fma_f64 v[42:43], v[48:49], v[42:43], -v[50:51]
	;; [unrolled: 2-line block ×6, first 2 shown]
	v_add_f64_e64 v[40:41], v[4:5], -v[40:41]
	v_add_f64_e64 v[42:43], v[6:7], -v[42:43]
	;; [unrolled: 1-line block ×8, first 2 shown]
	v_fma_f64 v[52:53], v[4:5], 2.0, -v[40:41]
	v_fma_f64 v[54:55], v[6:7], 2.0, -v[42:43]
	;; [unrolled: 1-line block ×4, first 2 shown]
	v_add_f64_e32 v[4:5], v[40:41], v[46:47]
	v_add_f64_e64 v[6:7], v[42:43], -v[44:45]
	v_fma_f64 v[56:57], v[8:9], 2.0, -v[48:49]
	v_fma_f64 v[58:59], v[10:11], 2.0, -v[50:51]
	;; [unrolled: 1-line block ×4, first 2 shown]
	v_add_f64_e32 v[8:9], v[48:49], v[18:19]
	v_add_f64_e64 v[10:11], v[50:51], -v[16:17]
	v_add_f64_e64 v[12:13], v[52:53], -v[32:33]
	;; [unrolled: 1-line block ×3, first 2 shown]
	v_fma_f64 v[32:33], v[40:41], 2.0, -v[4:5]
	v_fma_f64 v[34:35], v[42:43], 2.0, -v[6:7]
	v_add_f64_e64 v[16:17], v[56:57], -v[36:37]
	v_add_f64_e64 v[18:19], v[58:59], -v[38:39]
	v_fma_f64 v[36:37], v[48:49], 2.0, -v[8:9]
	v_fma_f64 v[38:39], v[50:51], 2.0, -v[10:11]
	;; [unrolled: 1-line block ×6, first 2 shown]
	ds_store_b128 v253, v[32:35] offset:1872
	ds_store_b128 v253, v[36:39] offset:2704
	;; [unrolled: 1-line block ×4, first 2 shown]
	ds_store_b128 v253, v[40:43]
	ds_store_b128 v253, v[44:47] offset:832
	ds_store_b128 v253, v[4:7] offset:5616
	;; [unrolled: 1-line block ×3, first 2 shown]
	s_and_saveexec_b32 s1, s0
	s_cbranch_execz .LBB0_21
; %bb.20:
	v_mul_f64_e32 v[4:5], v[26:27], v[84:85]
	v_mul_f64_e32 v[6:7], v[30:31], v[94:95]
	;; [unrolled: 1-line block ×6, first 2 shown]
	v_fma_f64 v[4:5], v[24:25], v[86:87], -v[4:5]
	v_fma_f64 v[6:7], v[28:29], v[92:93], v[6:7]
	v_fma_f64 v[8:9], v[28:29], v[94:95], -v[8:9]
	v_fma_f64 v[10:11], v[20:21], v[78:79], -v[10:11]
	v_fma_f64 v[12:13], v[24:25], v[84:85], v[12:13]
	v_fma_f64 v[14:15], v[20:21], v[76:77], v[14:15]
	v_add_f64_e64 v[16:17], v[2:3], -v[4:5]
	s_delay_alu instid0(VALU_DEP_4) | instskip(NEXT) | instid1(VALU_DEP_4)
	v_add_f64_e64 v[10:11], v[8:9], -v[10:11]
	v_add_f64_e64 v[18:19], v[0:1], -v[12:13]
	s_delay_alu instid0(VALU_DEP_4) | instskip(NEXT) | instid1(VALU_DEP_4)
	v_add_f64_e64 v[4:5], v[6:7], -v[14:15]
	v_fma_f64 v[12:13], v[2:3], 2.0, -v[16:17]
	s_delay_alu instid0(VALU_DEP_4) | instskip(NEXT) | instid1(VALU_DEP_4)
	v_fma_f64 v[8:9], v[8:9], 2.0, -v[10:11]
	v_fma_f64 v[20:21], v[0:1], 2.0, -v[18:19]
	s_delay_alu instid0(VALU_DEP_4) | instskip(SKIP_1) | instid1(VALU_DEP_4)
	v_fma_f64 v[0:1], v[6:7], 2.0, -v[4:5]
	v_add_f64_e64 v[2:3], v[16:17], -v[4:5]
	v_add_f64_e64 v[6:7], v[12:13], -v[8:9]
	s_delay_alu instid0(VALU_DEP_3) | instskip(SKIP_1) | instid1(VALU_DEP_4)
	v_add_f64_e64 v[4:5], v[20:21], -v[0:1]
	v_add_f64_e32 v[0:1], v[18:19], v[10:11]
	v_fma_f64 v[10:11], v[16:17], 2.0, -v[2:3]
	s_delay_alu instid0(VALU_DEP_4) | instskip(NEXT) | instid1(VALU_DEP_4)
	v_fma_f64 v[14:15], v[12:13], 2.0, -v[6:7]
	v_fma_f64 v[12:13], v[20:21], 2.0, -v[4:5]
	s_delay_alu instid0(VALU_DEP_4)
	v_fma_f64 v[8:9], v[18:19], 2.0, -v[0:1]
	ds_store_b128 v253, v[12:15] offset:1664
	ds_store_b128 v253, v[8:11] offset:3536
	ds_store_b128 v253, v[4:7] offset:5408
	ds_store_b128 v253, v[0:3] offset:7280
.LBB0_21:
	s_wait_alu 0xfffe
	s_or_b32 exec_lo, exec_lo, s1
	global_wb scope:SCOPE_SE
	s_wait_dscnt 0x0
	s_barrier_signal -1
	s_barrier_wait -1
	global_inv scope:SCOPE_SE
	s_and_b32 exec_lo, exec_lo, vcc_lo
	s_cbranch_execz .LBB0_23
; %bb.22:
	s_clause 0xb
	global_load_b128 v[0:3], v253, s[8:9]
	global_load_b128 v[4:7], v253, s[8:9] offset:576
	global_load_b128 v[8:11], v253, s[8:9] offset:1152
	;; [unrolled: 1-line block ×11, first 2 shown]
	v_mad_co_u64_u32 v[88:89], null, s6, v132, 0
	v_mad_co_u64_u32 v[100:101], null, s4, v254, 0
	s_mul_u64 s[0:1], s[4:5], 0x240
	s_mov_b32 s2, 0x11811812
	s_mov_b32 s3, 0x3f618118
	s_delay_alu instid0(VALU_DEP_2) | instskip(NEXT) | instid1(VALU_DEP_2)
	v_mov_b32_e32 v48, v89
	v_mov_b32_e32 v64, v101
	s_delay_alu instid0(VALU_DEP_2)
	v_mad_co_u64_u32 v[72:73], null, s7, v132, v[48:49]
	ds_load_b128 v[48:51], v253
	ds_load_b128 v[52:55], v253 offset:576
	ds_load_b128 v[56:59], v253 offset:1152
	ds_load_b128 v[60:63], v253 offset:1728
	v_mad_co_u64_u32 v[90:91], null, s5, v254, v[64:65]
	ds_load_b128 v[64:67], v253 offset:2304
	ds_load_b128 v[68:71], v253 offset:2880
	v_mov_b32_e32 v89, v72
	ds_load_b128 v[72:75], v253 offset:3456
	ds_load_b128 v[76:79], v253 offset:4032
	;; [unrolled: 1-line block ×4, first 2 shown]
	v_mov_b32_e32 v101, v90
	v_lshlrev_b64_e32 v[102:103], 4, v[88:89]
	ds_load_b128 v[88:91], v253 offset:5760
	ds_load_b128 v[92:95], v253 offset:6336
	ds_load_b128 v[96:99], v253 offset:6912
	v_lshlrev_b64_e32 v[100:101], 4, v[100:101]
	v_add_co_u32 v126, vcc_lo, s12, v102
	v_add_co_ci_u32_e32 v127, vcc_lo, s13, v103, vcc_lo
	s_delay_alu instid0(VALU_DEP_2) | instskip(SKIP_1) | instid1(VALU_DEP_2)
	v_add_co_u32 v100, vcc_lo, v126, v100
	s_wait_alu 0xfffd
	v_add_co_ci_u32_e32 v101, vcc_lo, v127, v101, vcc_lo
	s_wait_alu 0xfffe
	s_delay_alu instid0(VALU_DEP_2) | instskip(SKIP_1) | instid1(VALU_DEP_2)
	v_add_co_u32 v126, vcc_lo, v100, s0
	s_wait_alu 0xfffd
	v_add_co_ci_u32_e32 v127, vcc_lo, s1, v101, vcc_lo
	s_delay_alu instid0(VALU_DEP_2) | instskip(SKIP_1) | instid1(VALU_DEP_2)
	v_add_co_u32 v128, vcc_lo, v126, s0
	s_wait_alu 0xfffd
	v_add_co_ci_u32_e32 v129, vcc_lo, s1, v127, vcc_lo
	s_wait_loadcnt_dscnt 0xb0c
	v_mul_f64_e32 v[102:103], v[50:51], v[2:3]
	v_mul_f64_e32 v[2:3], v[48:49], v[2:3]
	s_wait_loadcnt_dscnt 0xa0b
	v_mul_f64_e32 v[104:105], v[54:55], v[6:7]
	v_mul_f64_e32 v[6:7], v[52:53], v[6:7]
	;; [unrolled: 3-line block ×12, first 2 shown]
	v_fma_f64 v[48:49], v[48:49], v[0:1], v[102:103]
	v_fma_f64 v[2:3], v[0:1], v[50:51], -v[2:3]
	v_fma_f64 v[50:51], v[52:53], v[4:5], v[104:105]
	v_fma_f64 v[6:7], v[4:5], v[54:55], -v[6:7]
	;; [unrolled: 2-line block ×12, first 2 shown]
	v_add_co_u32 v72, vcc_lo, v128, s0
	s_wait_alu 0xfffd
	v_add_co_ci_u32_e32 v73, vcc_lo, s1, v129, vcc_lo
	s_delay_alu instid0(VALU_DEP_2) | instskip(SKIP_1) | instid1(VALU_DEP_2)
	v_add_co_u32 v74, vcc_lo, v72, s0
	s_wait_alu 0xfffd
	v_add_co_ci_u32_e32 v75, vcc_lo, s1, v73, vcc_lo
	s_delay_alu instid0(VALU_DEP_2) | instskip(SKIP_1) | instid1(VALU_DEP_2)
	v_add_co_u32 v76, vcc_lo, v74, s0
	s_wait_alu 0xfffd
	v_add_co_ci_u32_e32 v77, vcc_lo, s1, v75, vcc_lo
	v_mul_f64_e32 v[0:1], s[2:3], v[48:49]
	v_mul_f64_e32 v[2:3], s[2:3], v[2:3]
	;; [unrolled: 1-line block ×24, first 2 shown]
	v_add_co_u32 v48, vcc_lo, v76, s0
	s_wait_alu 0xfffd
	v_add_co_ci_u32_e32 v49, vcc_lo, s1, v77, vcc_lo
	s_delay_alu instid0(VALU_DEP_2) | instskip(SKIP_1) | instid1(VALU_DEP_2)
	v_add_co_u32 v50, vcc_lo, v48, s0
	s_wait_alu 0xfffd
	v_add_co_ci_u32_e32 v51, vcc_lo, s1, v49, vcc_lo
	s_delay_alu instid0(VALU_DEP_2) | instskip(SKIP_1) | instid1(VALU_DEP_2)
	;; [unrolled: 4-line block ×5, first 2 shown]
	v_add_co_u32 v58, vcc_lo, v56, s0
	s_wait_alu 0xfffd
	v_add_co_ci_u32_e32 v59, vcc_lo, s1, v57, vcc_lo
	s_clause 0x4
	global_store_b128 v[100:101], v[0:3], off
	global_store_b128 v[126:127], v[4:7], off
	;; [unrolled: 1-line block ×12, first 2 shown]
	global_load_b128 v[0:3], v253, s[8:9] offset:6912
	s_wait_loadcnt_dscnt 0x0
	v_mul_f64_e32 v[4:5], v[98:99], v[2:3]
	v_mul_f64_e32 v[2:3], v[96:97], v[2:3]
	s_delay_alu instid0(VALU_DEP_2) | instskip(NEXT) | instid1(VALU_DEP_2)
	v_fma_f64 v[4:5], v[96:97], v[0:1], v[4:5]
	v_fma_f64 v[2:3], v[0:1], v[98:99], -v[2:3]
	s_delay_alu instid0(VALU_DEP_2) | instskip(NEXT) | instid1(VALU_DEP_2)
	v_mul_f64_e32 v[0:1], s[2:3], v[4:5]
	v_mul_f64_e32 v[2:3], s[2:3], v[2:3]
	v_add_co_u32 v4, vcc_lo, v58, s0
	s_wait_alu 0xfffd
	v_add_co_ci_u32_e32 v5, vcc_lo, s1, v59, vcc_lo
	global_store_b128 v[4:5], v[0:3], off
.LBB0_23:
	s_nop 0
	s_sendmsg sendmsg(MSG_DEALLOC_VGPRS)
	s_endpgm
	.section	.rodata,"a",@progbits
	.p2align	6, 0x0
	.amdhsa_kernel bluestein_single_fwd_len468_dim1_dp_op_CI_CI
		.amdhsa_group_segment_fixed_size 7488
		.amdhsa_private_segment_fixed_size 12
		.amdhsa_kernarg_size 104
		.amdhsa_user_sgpr_count 2
		.amdhsa_user_sgpr_dispatch_ptr 0
		.amdhsa_user_sgpr_queue_ptr 0
		.amdhsa_user_sgpr_kernarg_segment_ptr 1
		.amdhsa_user_sgpr_dispatch_id 0
		.amdhsa_user_sgpr_private_segment_size 0
		.amdhsa_wavefront_size32 1
		.amdhsa_uses_dynamic_stack 0
		.amdhsa_enable_private_segment 1
		.amdhsa_system_sgpr_workgroup_id_x 1
		.amdhsa_system_sgpr_workgroup_id_y 0
		.amdhsa_system_sgpr_workgroup_id_z 0
		.amdhsa_system_sgpr_workgroup_info 0
		.amdhsa_system_vgpr_workitem_id 0
		.amdhsa_next_free_vgpr 256
		.amdhsa_next_free_sgpr 46
		.amdhsa_reserve_vcc 1
		.amdhsa_float_round_mode_32 0
		.amdhsa_float_round_mode_16_64 0
		.amdhsa_float_denorm_mode_32 3
		.amdhsa_float_denorm_mode_16_64 3
		.amdhsa_fp16_overflow 0
		.amdhsa_workgroup_processor_mode 1
		.amdhsa_memory_ordered 1
		.amdhsa_forward_progress 0
		.amdhsa_round_robin_scheduling 0
		.amdhsa_exception_fp_ieee_invalid_op 0
		.amdhsa_exception_fp_denorm_src 0
		.amdhsa_exception_fp_ieee_div_zero 0
		.amdhsa_exception_fp_ieee_overflow 0
		.amdhsa_exception_fp_ieee_underflow 0
		.amdhsa_exception_fp_ieee_inexact 0
		.amdhsa_exception_int_div_zero 0
	.end_amdhsa_kernel
	.text
.Lfunc_end0:
	.size	bluestein_single_fwd_len468_dim1_dp_op_CI_CI, .Lfunc_end0-bluestein_single_fwd_len468_dim1_dp_op_CI_CI
                                        ; -- End function
	.section	.AMDGPU.csdata,"",@progbits
; Kernel info:
; codeLenInByte = 14396
; NumSgprs: 48
; NumVgprs: 256
; ScratchSize: 12
; MemoryBound: 0
; FloatMode: 240
; IeeeMode: 1
; LDSByteSize: 7488 bytes/workgroup (compile time only)
; SGPRBlocks: 5
; VGPRBlocks: 31
; NumSGPRsForWavesPerEU: 48
; NumVGPRsForWavesPerEU: 256
; Occupancy: 5
; WaveLimiterHint : 1
; COMPUTE_PGM_RSRC2:SCRATCH_EN: 1
; COMPUTE_PGM_RSRC2:USER_SGPR: 2
; COMPUTE_PGM_RSRC2:TRAP_HANDLER: 0
; COMPUTE_PGM_RSRC2:TGID_X_EN: 1
; COMPUTE_PGM_RSRC2:TGID_Y_EN: 0
; COMPUTE_PGM_RSRC2:TGID_Z_EN: 0
; COMPUTE_PGM_RSRC2:TIDIG_COMP_CNT: 0
	.text
	.p2alignl 7, 3214868480
	.fill 96, 4, 3214868480
	.type	__hip_cuid_1c51914c96c85757,@object ; @__hip_cuid_1c51914c96c85757
	.section	.bss,"aw",@nobits
	.globl	__hip_cuid_1c51914c96c85757
__hip_cuid_1c51914c96c85757:
	.byte	0                               ; 0x0
	.size	__hip_cuid_1c51914c96c85757, 1

	.ident	"AMD clang version 19.0.0git (https://github.com/RadeonOpenCompute/llvm-project roc-6.4.0 25133 c7fe45cf4b819c5991fe208aaa96edf142730f1d)"
	.section	".note.GNU-stack","",@progbits
	.addrsig
	.addrsig_sym __hip_cuid_1c51914c96c85757
	.amdgpu_metadata
---
amdhsa.kernels:
  - .args:
      - .actual_access:  read_only
        .address_space:  global
        .offset:         0
        .size:           8
        .value_kind:     global_buffer
      - .actual_access:  read_only
        .address_space:  global
        .offset:         8
        .size:           8
        .value_kind:     global_buffer
      - .actual_access:  read_only
        .address_space:  global
        .offset:         16
        .size:           8
        .value_kind:     global_buffer
      - .actual_access:  read_only
        .address_space:  global
        .offset:         24
        .size:           8
        .value_kind:     global_buffer
      - .actual_access:  read_only
        .address_space:  global
        .offset:         32
        .size:           8
        .value_kind:     global_buffer
      - .offset:         40
        .size:           8
        .value_kind:     by_value
      - .address_space:  global
        .offset:         48
        .size:           8
        .value_kind:     global_buffer
      - .address_space:  global
        .offset:         56
        .size:           8
        .value_kind:     global_buffer
      - .address_space:  global
        .offset:         64
        .size:           8
        .value_kind:     global_buffer
      - .address_space:  global
        .offset:         72
        .size:           8
        .value_kind:     global_buffer
      - .offset:         80
        .size:           4
        .value_kind:     by_value
      - .address_space:  global
        .offset:         88
        .size:           8
        .value_kind:     global_buffer
      - .address_space:  global
        .offset:         96
        .size:           8
        .value_kind:     global_buffer
    .group_segment_fixed_size: 7488
    .kernarg_segment_align: 8
    .kernarg_segment_size: 104
    .language:       OpenCL C
    .language_version:
      - 2
      - 0
    .max_flat_workgroup_size: 52
    .name:           bluestein_single_fwd_len468_dim1_dp_op_CI_CI
    .private_segment_fixed_size: 12
    .sgpr_count:     48
    .sgpr_spill_count: 0
    .symbol:         bluestein_single_fwd_len468_dim1_dp_op_CI_CI.kd
    .uniform_work_group_size: 1
    .uses_dynamic_stack: false
    .vgpr_count:     256
    .vgpr_spill_count: 2
    .wavefront_size: 32
    .workgroup_processor_mode: 1
amdhsa.target:   amdgcn-amd-amdhsa--gfx1201
amdhsa.version:
  - 1
  - 2
...

	.end_amdgpu_metadata
